;; amdgpu-corpus repo=ROCm/rocFFT kind=compiled arch=gfx1201 opt=O3
	.text
	.amdgcn_target "amdgcn-amd-amdhsa--gfx1201"
	.amdhsa_code_object_version 6
	.protected	bluestein_single_fwd_len68_dim1_sp_op_CI_CI ; -- Begin function bluestein_single_fwd_len68_dim1_sp_op_CI_CI
	.globl	bluestein_single_fwd_len68_dim1_sp_op_CI_CI
	.p2align	8
	.type	bluestein_single_fwd_len68_dim1_sp_op_CI_CI,@function
bluestein_single_fwd_len68_dim1_sp_op_CI_CI: ; @bluestein_single_fwd_len68_dim1_sp_op_CI_CI
; %bb.0:
	s_load_b128 s[8:11], s[0:1], 0x28
	v_mul_u32_u24_e32 v1, 0xf10, v0
	s_mov_b32 s2, exec_lo
	s_delay_alu instid0(VALU_DEP_1) | instskip(NEXT) | instid1(VALU_DEP_1)
	v_lshrrev_b32_e32 v1, 16, v1
	v_mad_co_u64_u32 v[36:37], null, ttmp9, 15, v[1:2]
	v_mov_b32_e32 v37, 0
	s_wait_kmcnt 0x0
	s_delay_alu instid0(VALU_DEP_1)
	v_cmpx_gt_u64_e64 s[8:9], v[36:37]
	s_cbranch_execz .LBB0_15
; %bb.1:
	v_mul_hi_u32 v2, 0x88888889, v36
	v_mul_lo_u16 v1, v1, 17
	s_clause 0x1
	s_load_b64 s[8:9], s[0:1], 0x0
	s_load_b64 s[12:13], s[0:1], 0x38
	s_delay_alu instid0(VALU_DEP_1) | instskip(NEXT) | instid1(VALU_DEP_3)
	v_sub_nc_u16 v0, v0, v1
	v_lshrrev_b32_e32 v1, 3, v2
	s_delay_alu instid0(VALU_DEP_2) | instskip(SKIP_1) | instid1(VALU_DEP_3)
	v_and_b32_e32 v78, 0xffff, v0
	v_cmp_gt_u16_e32 vcc_lo, 4, v0
	v_mul_lo_u32 v1, v1, 15
	s_delay_alu instid0(VALU_DEP_3)
	v_lshlrev_b32_e32 v61, 3, v78
	v_or_b32_e32 v77, 4, v78
	v_or_b32_e32 v76, 8, v78
	;; [unrolled: 1-line block ×4, first 2 shown]
	v_sub_nc_u32_e32 v0, v36, v1
	v_or_b32_e32 v73, 20, v78
	v_or_b32_e32 v72, 24, v78
	;; [unrolled: 1-line block ×4, first 2 shown]
	v_mul_u32_u24_e32 v81, 0x44, v0
	v_or_b32_e32 v69, 36, v78
	v_or_b32_e32 v68, 40, v78
	;; [unrolled: 1-line block ×9, first 2 shown]
	v_lshlrev_b32_e32 v79, 3, v0
	s_and_saveexec_b32 s3, vcc_lo
	s_cbranch_execz .LBB0_3
; %bb.2:
	s_load_b64 s[4:5], s[0:1], 0x18
	s_wait_kmcnt 0x0
	s_load_b128 s[4:7], s[4:5], 0x0
	s_wait_kmcnt 0x0
	v_mad_co_u64_u32 v[0:1], null, s6, v36, 0
	v_mad_co_u64_u32 v[2:3], null, s4, v78, 0
	;; [unrolled: 1-line block ×5, first 2 shown]
	s_delay_alu instid0(VALU_DEP_4) | instskip(NEXT) | instid1(VALU_DEP_4)
	v_mad_co_u64_u32 v[18:19], null, s7, v36, v[1:2]
	v_mad_co_u64_u32 v[19:20], null, s5, v78, v[3:4]
	;; [unrolled: 1-line block ×4, first 2 shown]
	s_delay_alu instid0(VALU_DEP_4) | instskip(SKIP_3) | instid1(VALU_DEP_4)
	v_mov_b32_e32 v1, v18
	v_mad_co_u64_u32 v[21:22], null, s5, v76, v[7:8]
	v_mad_co_u64_u32 v[31:32], null, s4, v67, 0
	v_mov_b32_e32 v3, v19
	v_lshlrev_b64_e32 v[0:1], 3, v[0:1]
	v_mad_co_u64_u32 v[22:23], null, s5, v75, v[9:10]
	v_mov_b32_e32 v5, v20
	s_delay_alu instid0(VALU_DEP_4)
	v_lshlrev_b64_e32 v[2:3], 3, v[2:3]
	v_mov_b32_e32 v7, v21
	v_add_co_u32 v80, s2, s10, v0
	v_mad_co_u64_u32 v[12:13], null, s4, v73, 0
	v_lshlrev_b64_e32 v[4:5], 3, v[4:5]
	v_add_co_ci_u32_e64 v88, s2, s11, v1, s2
	v_mov_b32_e32 v9, v22
	v_lshlrev_b64_e32 v[6:7], 3, v[6:7]
	v_add_co_u32 v2, s2, v80, v2
	s_wait_alu 0xf1ff
	v_add_co_ci_u32_e64 v3, s2, v88, v3, s2
	v_lshlrev_b64_e32 v[0:1], 3, v[8:9]
	v_add_co_u32 v4, s2, v80, v4
	v_mad_co_u64_u32 v[23:24], null, s5, v74, v[11:12]
	s_wait_alu 0xf1ff
	v_add_co_ci_u32_e64 v5, s2, v88, v5, s2
	v_add_co_u32 v6, s2, v80, v6
	s_wait_alu 0xf1ff
	v_add_co_ci_u32_e64 v7, s2, v88, v7, s2
	v_add_co_u32 v0, s2, v80, v0
	s_wait_alu 0xf1ff
	v_add_co_ci_u32_e64 v1, s2, v88, v1, s2
	v_mov_b32_e32 v11, v23
	s_clause 0x3
	global_load_b64 v[2:3], v[2:3], off
	global_load_b64 v[4:5], v[4:5], off
	;; [unrolled: 1-line block ×4, first 2 shown]
	s_clause 0x3
	global_load_b64 v[8:9], v61, s[8:9]
	global_load_b64 v[18:19], v61, s[8:9] offset:32
	global_load_b64 v[20:21], v61, s[8:9] offset:64
	;; [unrolled: 1-line block ×3, first 2 shown]
	v_mad_co_u64_u32 v[14:15], null, s4, v72, 0
	v_mad_co_u64_u32 v[16:17], null, s4, v71, 0
	;; [unrolled: 1-line block ×3, first 2 shown]
	s_delay_alu instid0(VALU_DEP_3) | instskip(NEXT) | instid1(VALU_DEP_3)
	v_mad_co_u64_u32 v[24:25], null, s5, v73, v[13:14]
	v_mad_co_u64_u32 v[25:26], null, s5, v72, v[15:16]
	s_delay_alu instid0(VALU_DEP_3) | instskip(NEXT) | instid1(VALU_DEP_3)
	v_mov_b32_e32 v35, v48
	v_mov_b32_e32 v13, v24
	s_delay_alu instid0(VALU_DEP_3) | instskip(SKIP_1) | instid1(VALU_DEP_2)
	v_mov_b32_e32 v15, v25
	v_mad_co_u64_u32 v[24:25], null, s4, v70, 0
	v_lshlrev_b64_e32 v[14:15], 3, v[14:15]
	s_wait_loadcnt 0x3
	v_mul_f32_e32 v92, v3, v9
	s_wait_loadcnt 0x2
	v_mad_co_u64_u32 v[26:27], null, s5, v71, v[17:18]
	s_wait_loadcnt 0x1
	v_dual_mul_f32 v94, v5, v19 :: v_dual_mul_f32 v97, v6, v21
	v_mul_f32_e32 v95, v4, v19
	s_wait_loadcnt 0x0
	v_dual_mul_f32 v19, v1, v23 :: v_dual_fmac_f32 v92, v2, v8
	s_delay_alu instid0(VALU_DEP_4) | instskip(SKIP_3) | instid1(VALU_DEP_4)
	v_mov_b32_e32 v17, v26
	v_mad_co_u64_u32 v[26:27], null, s4, v69, 0
	v_fma_f32 v97, v7, v20, -v97
	v_fma_f32 v95, v5, v18, -v95
	v_lshlrev_b64_e32 v[16:17], 3, v[16:17]
	v_fmac_f32_e32 v19, v0, v22
	v_mad_co_u64_u32 v[28:29], null, s5, v70, v[25:26]
	v_mad_co_u64_u32 v[29:30], null, s4, v68, 0
	s_delay_alu instid0(VALU_DEP_2) | instskip(SKIP_1) | instid1(VALU_DEP_3)
	v_mov_b32_e32 v25, v28
	v_mad_co_u64_u32 v[27:28], null, s5, v69, v[27:28]
	v_mov_b32_e32 v28, v30
	s_delay_alu instid0(VALU_DEP_3) | instskip(NEXT) | instid1(VALU_DEP_2)
	v_lshlrev_b64_e32 v[24:25], 3, v[24:25]
	v_mad_co_u64_u32 v[43:44], null, s5, v68, v[28:29]
	v_mov_b32_e32 v28, v32
	v_lshlrev_b64_e32 v[26:27], 3, v[26:27]
	s_delay_alu instid0(VALU_DEP_2) | instskip(SKIP_2) | instid1(VALU_DEP_3)
	v_mad_co_u64_u32 v[44:45], null, s5, v67, v[28:29]
	v_mad_co_u64_u32 v[45:46], null, s4, v66, 0
	v_mov_b32_e32 v30, v43
	v_mov_b32_e32 v32, v44
	s_delay_alu instid0(VALU_DEP_2) | instskip(NEXT) | instid1(VALU_DEP_4)
	v_lshlrev_b64_e32 v[28:29], 3, v[29:30]
	v_mov_b32_e32 v30, v46
	v_mad_co_u64_u32 v[43:44], null, s4, v65, 0
	s_delay_alu instid0(VALU_DEP_4) | instskip(NEXT) | instid1(VALU_DEP_1)
	v_lshlrev_b64_e32 v[31:32], 3, v[31:32]
	v_mad_co_u64_u32 v[49:50], null, s5, v66, v[30:31]
	s_delay_alu instid0(VALU_DEP_3) | instskip(SKIP_1) | instid1(VALU_DEP_3)
	v_mov_b32_e32 v30, v44
	v_lshlrev_b64_e32 v[10:11], 3, v[10:11]
	v_mov_b32_e32 v46, v49
	v_lshlrev_b64_e32 v[12:13], 3, v[12:13]
	s_delay_alu instid0(VALU_DEP_3) | instskip(SKIP_1) | instid1(VALU_DEP_4)
	v_add_co_u32 v10, s2, v80, v10
	s_wait_alu 0xf1ff
	v_add_co_ci_u32_e64 v11, s2, v88, v11, s2
	v_lshlrev_b64_e32 v[45:46], 3, v[45:46]
	s_delay_alu instid0(VALU_DEP_4)
	v_add_co_u32 v12, s2, v80, v12
	s_wait_alu 0xf1ff
	v_add_co_ci_u32_e64 v13, s2, v88, v13, s2
	v_add_co_u32 v14, s2, v80, v14
	s_wait_alu 0xf1ff
	v_add_co_ci_u32_e64 v15, s2, v88, v15, s2
	;; [unrolled: 3-line block ×3, first 2 shown]
	s_clause 0x3
	global_load_b64 v[10:11], v[10:11], off
	global_load_b64 v[12:13], v[12:13], off
	;; [unrolled: 1-line block ×4, first 2 shown]
	s_clause 0x3
	global_load_b64 v[33:34], v61, s[8:9] offset:128
	global_load_b64 v[37:38], v61, s[8:9] offset:160
	;; [unrolled: 1-line block ×4, first 2 shown]
	v_add_co_u32 v24, s2, v80, v24
	s_wait_alu 0xf1ff
	v_add_co_ci_u32_e64 v25, s2, v88, v25, s2
	v_add_co_u32 v26, s2, v80, v26
	s_wait_alu 0xf1ff
	v_add_co_ci_u32_e64 v27, s2, v88, v27, s2
	;; [unrolled: 3-line block ×4, first 2 shown]
	v_add_co_u32 v45, s2, v80, v45
	s_delay_alu instid0(VALU_DEP_3)
	v_mad_co_u64_u32 v[50:51], null, s5, v65, v[30:31]
	v_mad_co_u64_u32 v[51:52], null, s5, v64, v[35:36]
	s_clause 0x3
	global_load_b64 v[24:25], v[24:25], off
	global_load_b64 v[26:27], v[26:27], off
	;; [unrolled: 1-line block ×4, first 2 shown]
	s_wait_alu 0xf1ff
	v_add_co_ci_u32_e64 v46, s2, v88, v46, s2
	v_mul_f32_e32 v35, v2, v9
	v_mov_b32_e32 v44, v50
	v_mad_co_u64_u32 v[49:50], null, s4, v63, 0
	v_mov_b32_e32 v48, v51
	v_mad_co_u64_u32 v[51:52], null, s4, v62, 0
	s_delay_alu instid0(VALU_DEP_4) | instskip(SKIP_1) | instid1(VALU_DEP_4)
	v_lshlrev_b64_e32 v[43:44], 3, v[43:44]
	v_mul_f32_e32 v96, v7, v21
	v_lshlrev_b64_e32 v[47:48], 3, v[47:48]
	v_mov_b32_e32 v32, v50
	v_mul_f32_e32 v98, v0, v23
	v_fma_f32 v93, v3, v8, -v35
	v_add_co_u32 v43, s2, v80, v43
	s_wait_alu 0xf1ff
	v_add_co_ci_u32_e64 v44, s2, v88, v44, s2
	v_add_co_u32 v47, s2, v80, v47
	s_wait_alu 0xf1ff
	v_add_co_ci_u32_e64 v48, s2, v88, v48, s2
	s_wait_loadcnt 0x7
	v_mul_f32_e32 v9, v11, v34
	v_mad_co_u64_u32 v[53:54], null, s5, v63, v[32:33]
	v_dual_mov_b32 v32, v52 :: v_dual_mul_f32 v99, v10, v34
	s_wait_loadcnt 0x6
	v_mul_f32_e32 v21, v13, v38
	s_wait_loadcnt 0x5
	v_dual_mul_f32 v100, v12, v38 :: v_dual_mul_f32 v101, v14, v40
	v_mad_co_u64_u32 v[54:55], null, s5, v62, v[32:33]
	v_mov_b32_e32 v50, v53
	s_clause 0x3
	global_load_b64 v[55:56], v61, s[8:9] offset:256
	global_load_b64 v[57:58], v61, s[8:9] offset:288
	;; [unrolled: 1-line block ×4, first 2 shown]
	s_clause 0x1
	global_load_b64 v[45:46], v[45:46], off
	global_load_b64 v[43:44], v[43:44], off
	v_mul_f32_e32 v32, v15, v40
	s_wait_loadcnt 0xa
	v_mul_f32_e32 v34, v17, v42
	v_mul_f32_e32 v102, v16, v42
	v_lshlrev_b64_e32 v[49:50], 3, v[49:50]
	v_mov_b32_e32 v52, v54
	s_clause 0x2
	global_load_b64 v[53:54], v61, s[8:9] offset:384
	global_load_b64 v[84:85], v61, s[8:9] offset:416
	;; [unrolled: 1-line block ×3, first 2 shown]
	v_dual_fmac_f32 v96, v6, v20 :: v_dual_fmac_f32 v21, v12, v37
	v_fma_f32 v20, v1, v22, -v98
	v_lshlrev_b64_e32 v[51:52], 3, v[51:52]
	v_add_co_u32 v49, s2, v80, v49
	s_wait_alu 0xf1ff
	v_add_co_ci_u32_e64 v50, s2, v88, v50, s2
	v_fma_f32 v22, v13, v37, -v100
	s_delay_alu instid0(VALU_DEP_4)
	v_add_co_u32 v51, s2, v80, v51
	s_wait_alu 0xf1ff
	v_add_co_ci_u32_e64 v52, s2, v88, v52, s2
	s_clause 0x1
	global_load_b64 v[47:48], v[47:48], off
	global_load_b64 v[49:50], v[49:50], off
	s_clause 0x1
	global_load_b64 v[88:89], v61, s[8:9] offset:480
	global_load_b64 v[90:91], v61, s[8:9] offset:512
	global_load_b64 v[51:52], v[51:52], off
	v_lshl_add_u32 v80, v81, 3, v61
	v_fmac_f32_e32 v9, v10, v33
	v_fma_f32 v10, v11, v33, -v99
	v_fma_f32 v33, v15, v39, -v101
	s_wait_loadcnt 0xc
	v_dual_mul_f32 v38, v25, v56 :: v_dual_mul_f32 v23, v27, v58
	v_dual_mul_f32 v103, v24, v56 :: v_dual_mul_f32 v104, v26, v58
	s_wait_loadcnt 0xb
	v_mul_f32_e32 v40, v29, v60
	v_mul_f32_e32 v60, v28, v60
	s_wait_loadcnt 0xa
	v_mul_f32_e32 v56, v31, v83
	v_dual_mul_f32 v105, v30, v83 :: v_dual_fmac_f32 v94, v4, v18
	v_fmac_f32_e32 v23, v26, v57
	s_wait_loadcnt 0x7
	v_mul_f32_e32 v58, v46, v54
	s_wait_loadcnt 0x6
	v_dual_mul_f32 v106, v45, v54 :: v_dual_mul_f32 v107, v43, v85
	v_fmac_f32_e32 v34, v16, v41
	v_fma_f32 v35, v17, v41, -v102
	v_fmac_f32_e32 v38, v24, v55
	v_fma_f32 v24, v27, v57, -v104
	v_fma_f32 v57, v31, v82, -v105
	s_wait_loadcnt 0x4
	v_mul_f32_e32 v54, v48, v87
	v_mul_f32_e32 v87, v47, v87
	s_wait_loadcnt 0x2
	v_mul_f32_e32 v83, v50, v89
	v_mul_f32_e32 v42, v44, v85
	;; [unrolled: 1-line block ×3, first 2 shown]
	s_wait_loadcnt 0x0
	v_mul_f32_e32 v85, v52, v91
	v_mul_f32_e32 v91, v51, v91
	v_dual_fmac_f32 v83, v49, v88 :: v_dual_fmac_f32 v32, v14, v39
	v_fma_f32 v39, v25, v55, -v103
	s_delay_alu instid0(VALU_DEP_4)
	v_dual_fmac_f32 v85, v51, v90 :: v_dual_fmac_f32 v40, v28, v59
	v_fma_f32 v41, v29, v59, -v60
	v_fmac_f32_e32 v56, v30, v82
	v_fmac_f32_e32 v58, v45, v53
	v_fma_f32 v59, v46, v53, -v106
	v_fmac_f32_e32 v42, v43, v84
	v_fma_f32 v43, v44, v84, -v107
	;; [unrolled: 2-line block ×3, first 2 shown]
	v_fma_f32 v84, v50, v88, -v89
	v_fma_f32 v86, v52, v90, -v91
	ds_store_b64 v79, v[92:93]
	ds_store_2addr_b64 v80, v[94:95], v[96:97] offset0:4 offset1:8
	ds_store_2addr_b64 v80, v[19:20], v[9:10] offset0:12 offset1:16
	;; [unrolled: 1-line block ×8, first 2 shown]
.LBB0_3:
	s_or_b32 exec_lo, exec_lo, s3
	s_load_b64 s[2:3], s[0:1], 0x20
	v_dual_mov_b32 v49, 0 :: v_dual_lshlrev_b32 v80, 3, v81
	v_mov_b32_e32 v50, 0
	global_wb scope:SCOPE_SE
	s_wait_dscnt 0x0
	s_wait_kmcnt 0x0
	s_barrier_signal -1
	s_barrier_wait -1
	global_inv scope:SCOPE_SE
                                        ; implicit-def: $vgpr19
                                        ; implicit-def: $vgpr13
                                        ; implicit-def: $vgpr7
                                        ; implicit-def: $vgpr11
                                        ; implicit-def: $vgpr23
                                        ; implicit-def: $vgpr27
                                        ; implicit-def: $vgpr30
                                        ; implicit-def: $vgpr34
	s_and_saveexec_b32 s4, vcc_lo
	s_cbranch_execz .LBB0_5
; %bb.4:
	v_lshl_add_u32 v0, v78, 3, v80
	ds_load_b64 v[49:50], v79
	ds_load_2addr_b64 v[32:35], v0 offset0:4 offset1:8
	ds_load_2addr_b64 v[28:31], v0 offset0:12 offset1:16
	;; [unrolled: 1-line block ×8, first 2 shown]
.LBB0_5:
	s_wait_alu 0xfffe
	s_or_b32 exec_lo, exec_lo, s4
	s_wait_dscnt 0x0
	v_dual_sub_f32 v54, v33, v7 :: v_dual_sub_f32 v55, v32, v6
	v_dual_add_f32 v94, v4, v34 :: v_dual_sub_f32 v57, v35, v5
	v_dual_add_f32 v90, v6, v32 :: v_dual_add_f32 v91, v7, v33
	s_delay_alu instid0(VALU_DEP_3) | instskip(SKIP_1) | instid1(VALU_DEP_4)
	v_dual_mul_f32 v83, 0xbeb8f4ab, v54 :: v_dual_mul_f32 v84, 0xbeb8f4ab, v55
	v_dual_sub_f32 v56, v34, v4 :: v_dual_add_f32 v95, v5, v35
	v_dual_mul_f32 v85, 0xbf2c7751, v57 :: v_dual_add_f32 v98, v10, v28
	v_add_f32_e32 v99, v11, v29
	s_delay_alu instid0(VALU_DEP_4) | instskip(SKIP_4) | instid1(VALU_DEP_4)
	v_fma_f32 v1, 0x3f6eb680, v91, -v84
	v_fmamk_f32 v0, v90, 0x3f6eb680, v83
	v_dual_mul_f32 v86, 0xbf2c7751, v56 :: v_dual_sub_f32 v59, v29, v11
	v_fmamk_f32 v2, v94, 0x3f3d2fb0, v85
	v_sub_f32_e32 v58, v28, v10
	v_dual_add_f32 v1, v1, v50 :: v_dual_add_f32 v0, v0, v49
	v_mul_f32_e32 v89, 0xbf2c7751, v54
	v_fma_f32 v3, 0x3f3d2fb0, v95, -v86
	s_delay_alu instid0(VALU_DEP_4) | instskip(SKIP_2) | instid1(VALU_DEP_4)
	v_dual_mul_f32 v87, 0xbf65296c, v59 :: v_dual_mul_f32 v88, 0xbf65296c, v58
	v_dual_add_f32 v103, v9, v31 :: v_dual_sub_f32 v60, v30, v8
	v_dual_sub_f32 v117, v16, v22 :: v_dual_add_f32 v0, v2, v0
	v_add_f32_e32 v1, v3, v1
	s_delay_alu instid0(VALU_DEP_3) | instskip(SKIP_4) | instid1(VALU_DEP_4)
	v_dual_sub_f32 v82, v31, v9 :: v_dual_mul_f32 v93, 0xbf7ee86f, v60
	v_fma_f32 v3, 0x3ee437d1, v99, -v88
	v_fmamk_f32 v2, v98, 0x3ee437d1, v87
	v_dual_add_f32 v102, v8, v30 :: v_dual_add_f32 v107, v23, v17
	v_dual_sub_f32 v118, v17, v23 :: v_dual_sub_f32 v125, v18, v20
	v_add_f32_e32 v1, v3, v1
	v_fma_f32 v3, 0x3dbcf732, v103, -v93
	v_mul_f32_e32 v92, 0xbf7ee86f, v82
	v_dual_add_f32 v0, v2, v0 :: v_dual_mul_f32 v97, 0xbf763a35, v117
	v_dual_add_f32 v106, v22, v16 :: v_dual_mul_f32 v101, 0xbf4c4adb, v125
	s_delay_alu instid0(VALU_DEP_3) | instskip(SKIP_1) | instid1(VALU_DEP_4)
	v_dual_add_f32 v1, v3, v1 :: v_dual_fmamk_f32 v2, v102, 0x3dbcf732, v92
	v_sub_f32_e32 v111, v19, v21
	v_fma_f32 v3, 0xbe8c1d8e, v107, -v97
	v_mul_f32_e32 v96, 0xbf763a35, v118
	v_dual_add_f32 v110, v19, v21 :: v_dual_add_f32 v145, v14, v24
	v_dual_add_f32 v0, v2, v0 :: v_dual_sub_f32 v135, v12, v26
	s_delay_alu instid0(VALU_DEP_4) | instskip(NEXT) | instid1(VALU_DEP_4)
	v_dual_add_f32 v128, v18, v20 :: v_dual_add_f32 v1, v3, v1
	v_dual_fmamk_f32 v2, v106, 0xbe8c1d8e, v96 :: v_dual_add_f32 v115, v13, v27
	s_delay_alu instid0(VALU_DEP_4) | instskip(NEXT) | instid1(VALU_DEP_4)
	v_fma_f32 v3, 0xbf1a4643, v110, -v101
	v_mul_f32_e32 v105, 0xbf06c442, v135
	s_delay_alu instid0(VALU_DEP_4) | instskip(NEXT) | instid1(VALU_DEP_4)
	v_mul_f32_e32 v100, 0xbf1a4643, v128
	v_dual_add_f32 v0, v2, v0 :: v_dual_sub_f32 v127, v15, v25
	s_delay_alu instid0(VALU_DEP_4) | instskip(SKIP_1) | instid1(VALU_DEP_4)
	v_dual_add_f32 v1, v3, v1 :: v_dual_add_f32 v136, v12, v26
	v_fmamk_f32 v37, v90, 0x3f3d2fb0, v89
	v_dual_fmamk_f32 v2, v111, 0xbf4c4adb, v100 :: v_dual_mul_f32 v121, 0xbf4c4adb, v59
	v_mul_f32_e32 v129, 0xbf2c7751, v55
	v_dual_sub_f32 v114, v13, v27 :: v_dual_mul_f32 v119, 0xbf7ee86f, v57
	s_delay_alu instid0(VALU_DEP_3)
	v_add_f32_e32 v0, v2, v0
	v_fma_f32 v3, 0xbf59a7d5, v115, -v105
	v_mul_f32_e32 v104, 0xbf59a7d5, v136
	v_fma_f32 v38, 0x3f3d2fb0, v91, -v129
	v_mul_f32_e32 v108, 0xbf7ba420, v145
	v_mul_f32_e32 v123, 0x3f06c442, v118
	v_add_f32_e32 v1, v3, v1
	s_delay_alu instid0(VALU_DEP_4) | instskip(SKIP_3) | instid1(VALU_DEP_3)
	v_dual_mul_f32 v130, 0x3f06c442, v117 :: v_dual_add_f32 v3, v38, v50
	v_fmamk_f32 v2, v114, 0xbf06c442, v104
	v_dual_sub_f32 v146, v14, v24 :: v_dual_fmamk_f32 v39, v127, 0xbe3c28d5, v108
	v_add_f32_e32 v132, v15, v25
	v_dual_mul_f32 v133, 0x3f763a35, v125 :: v_dual_add_f32 v0, v2, v0
	v_dual_add_f32 v2, v37, v49 :: v_dual_fmamk_f32 v37, v94, 0x3dbcf732, v119
	v_mul_f32_e32 v131, 0xbf7ee86f, v56
	v_mul_f32_e32 v109, 0xbe3c28d5, v146
	v_fmamk_f32 v41, v106, 0xbf59a7d5, v123
	v_mul_f32_e32 v124, 0xbf4c4adb, v58
	v_add_f32_e32 v2, v37, v2
	v_fma_f32 v37, 0x3dbcf732, v95, -v131
	v_fma_f32 v40, 0xbf7ba420, v132, -v109
	v_mul_f32_e32 v122, 0xbe3c28d5, v82
	v_mul_f32_e32 v139, 0xbf65296c, v54
	;; [unrolled: 1-line block ×3, first 2 shown]
	v_add_f32_e32 v3, v37, v3
	v_fma_f32 v37, 0xbf1a4643, v99, -v124
	v_fmamk_f32 v38, v98, 0xbf1a4643, v121
	v_mul_f32_e32 v147, 0xbf65296c, v55
	v_mul_f32_e32 v116, 0x3f65296c, v135
	s_delay_alu instid0(VALU_DEP_4) | instskip(NEXT) | instid1(VALU_DEP_4)
	v_dual_mul_f32 v142, 0xbf4c4adb, v57 :: v_dual_add_f32 v3, v37, v3
	v_add_f32_e32 v2, v38, v2
	v_fmamk_f32 v38, v102, 0xbf7ba420, v122
	v_mul_f32_e32 v126, 0xbe3c28d5, v60
	v_mul_f32_e32 v148, 0xbf4c4adb, v56
	;; [unrolled: 1-line block ×3, first 2 shown]
	v_dual_mul_f32 v141, 0x3f763a35, v82 :: v_dual_mul_f32 v150, 0x3f763a35, v60
	v_add_f32_e32 v37, v38, v2
	v_fma_f32 v38, 0xbf7ba420, v103, -v126
	v_add_f32_e32 v2, v39, v0
	v_mul_f32_e32 v134, 0x3eb8f4ab, v146
	v_fma_f32 v42, 0xbe8c1d8e, v103, -v150
	s_delay_alu instid0(VALU_DEP_4) | instskip(SKIP_4) | instid1(VALU_DEP_4)
	v_dual_add_f32 v37, v41, v37 :: v_dual_add_f32 v0, v38, v3
	v_fma_f32 v38, 0xbf59a7d5, v107, -v130
	v_add_f32_e32 v3, v40, v1
	v_fma_f32 v1, 0xbe8c1d8e, v110, -v133
	v_fma_f32 v40, 0xbf1a4643, v95, -v148
	v_dual_mul_f32 v143, 0x3e3c28d5, v59 :: v_dual_add_f32 v0, v38, v0
	v_fmamk_f32 v38, v114, 0x3f65296c, v113
	v_mul_f32_e32 v112, 0xbe8c1d8e, v128
	v_dual_mul_f32 v137, 0x3f2c7751, v118 :: v_dual_mul_f32 v152, 0x3f2c7751, v117
	s_delay_alu instid0(VALU_DEP_4) | instskip(SKIP_1) | instid1(VALU_DEP_4)
	v_add_f32_e32 v0, v1, v0
	v_mul_f32_e32 v138, 0x3f6eb680, v128
	v_fmamk_f32 v39, v111, 0x3f763a35, v112
	v_mul_f32_e32 v140, 0x3dbcf732, v136
	v_dual_mul_f32 v47, 0x3f763a35, v59 :: v_dual_mul_f32 v48, 0x3f763a35, v58
	v_mul_f32_e32 v151, 0xbeb8f4ab, v125
	s_delay_alu instid0(VALU_DEP_4) | instskip(SKIP_3) | instid1(VALU_DEP_3)
	v_add_f32_e32 v37, v39, v37
	v_fma_f32 v39, 0x3ee437d1, v91, -v147
	v_dual_mul_f32 v155, 0xbf65296c, v118 :: v_dual_mul_f32 v156, 0xbf65296c, v117
	v_mul_f32_e32 v144, 0xbf59a7d5, v145
	v_dual_mul_f32 v158, 0xbf1a4643, v136 :: v_dual_add_f32 v39, v39, v50
	v_add_f32_e32 v1, v38, v37
	v_fma_f32 v37, 0x3ee437d1, v115, -v116
	v_fmamk_f32 v38, v90, 0x3ee437d1, v139
	v_mul_f32_e32 v43, 0xbf7ee86f, v54
	v_dual_mul_f32 v160, 0xbe3c28d5, v118 :: v_dual_mul_f32 v161, 0xbe3c28d5, v117
	s_delay_alu instid0(VALU_DEP_3) | instskip(SKIP_2) | instid1(VALU_DEP_4)
	v_dual_add_f32 v37, v37, v0 :: v_dual_add_f32 v0, v38, v49
	v_fmamk_f32 v38, v94, 0xbf1a4643, v142
	v_mul_f32_e32 v149, 0x3e3c28d5, v58
	v_fmamk_f32 v162, v107, 0xbf7ba420, v161
	v_mul_f32_e32 v167, 0x3f4c4adb, v60
	s_delay_alu instid0(VALU_DEP_4)
	v_dual_mul_f32 v169, 0xbeb8f4ab, v117 :: v_dual_add_f32 v0, v38, v0
	v_dual_add_f32 v38, v40, v39 :: v_dual_fmamk_f32 v39, v98, 0xbf7ba420, v143
	v_fma_f32 v40, 0xbf7ba420, v99, -v149
	v_fmamk_f32 v41, v127, 0x3eb8f4ab, v120
	s_load_b64 s[0:1], s[0:1], 0x8
	global_wb scope:SCOPE_SE
	v_dual_add_f32 v39, v39, v0 :: v_dual_add_f32 v38, v40, v38
	v_add_f32_e32 v0, v41, v1
	v_fma_f32 v41, 0x3f6eb680, v132, -v134
	v_fmamk_f32 v40, v102, 0xbe8c1d8e, v141
	s_wait_kmcnt 0x0
	s_barrier_signal -1
	v_add_f32_e32 v38, v42, v38
	s_barrier_wait -1
	global_inv scope:SCOPE_SE
	v_add_f32_e32 v1, v40, v39
	v_fmamk_f32 v39, v106, 0x3f3d2fb0, v137
	v_fma_f32 v40, 0x3f3d2fb0, v107, -v152
	v_mul_f32_e32 v53, 0x3eb8f4ab, v60
	v_mul_f32_e32 v159, 0xbf65296c, v60
	s_delay_alu instid0(VALU_DEP_4) | instskip(NEXT) | instid1(VALU_DEP_4)
	v_dual_mul_f32 v164, 0x3f7ee86f, v118 :: v_dual_add_f32 v1, v39, v1
	v_dual_add_f32 v38, v40, v38 :: v_dual_fmamk_f32 v39, v111, 0xbeb8f4ab, v138
	v_fma_f32 v40, 0x3f6eb680, v110, -v151
	v_mul_f32_e32 v153, 0xbf7ee86f, v135
	v_mul_f32_e32 v163, 0xbf06c442, v60
	s_delay_alu instid0(VALU_DEP_4) | instskip(NEXT) | instid1(VALU_DEP_4)
	v_dual_mul_f32 v170, 0xbf7ba420, v128 :: v_dual_add_f32 v39, v39, v1
	v_add_f32_e32 v38, v40, v38
	v_dual_fmamk_f32 v40, v114, 0xbf7ee86f, v140 :: v_dual_add_f32 v1, v41, v37
	v_fma_f32 v42, 0x3dbcf732, v115, -v153
	v_mul_f32_e32 v41, 0xbf7ee86f, v55
	s_delay_alu instid0(VALU_DEP_3) | instskip(SKIP_1) | instid1(VALU_DEP_4)
	v_dual_mul_f32 v168, 0xbeb8f4ab, v118 :: v_dual_add_f32 v37, v40, v39
	v_fma_f32 v39, 0x3dbcf732, v90, -v43
	v_add_f32_e32 v38, v42, v38
	v_mul_f32_e32 v40, 0xbe3c28d5, v57
	v_fmac_f32_e32 v43, 0x3dbcf732, v90
	s_delay_alu instid0(VALU_DEP_4) | instskip(SKIP_1) | instid1(VALU_DEP_4)
	v_dual_mul_f32 v52, 0x3eb8f4ab, v82 :: v_dual_add_f32 v39, v39, v49
	v_mul_f32_e32 v172, 0xbe3c28d5, v125
	v_fma_f32 v45, 0xbf7ba420, v94, -v40
	s_delay_alu instid0(VALU_DEP_4) | instskip(NEXT) | instid1(VALU_DEP_2)
	v_dual_add_f32 v43, v43, v49 :: v_dual_mul_f32 v60, 0x3f2c7751, v60
	v_dual_mul_f32 v118, 0xbf4c4adb, v118 :: v_dual_add_f32 v39, v45, v39
	v_fma_f32 v45, 0xbe8c1d8e, v98, -v47
	v_fmac_f32_e32 v47, 0xbe8c1d8e, v98
	s_delay_alu instid0(VALU_DEP_2) | instskip(SKIP_1) | instid1(VALU_DEP_1)
	v_add_f32_e32 v39, v45, v39
	v_fma_f32 v45, 0x3f6eb680, v102, -v52
	v_add_f32_e32 v39, v45, v39
	v_fma_f32 v45, 0x3ee437d1, v106, -v155
	v_fmamk_f32 v42, v91, 0x3dbcf732, v41
	v_fma_f32 v41, 0x3dbcf732, v91, -v41
	v_fmac_f32_e32 v40, 0xbf7ba420, v94
	v_fmac_f32_e32 v155, 0x3ee437d1, v106
	v_add_f32_e32 v39, v45, v39
	v_dual_mul_f32 v45, 0xbf59a7d5, v128 :: v_dual_add_f32 v42, v42, v50
	v_fmamk_f32 v51, v127, 0xbf06c442, v144
	v_dual_mul_f32 v44, 0xbe3c28d5, v56 :: v_dual_add_f32 v41, v41, v50
	s_delay_alu instid0(VALU_DEP_2) | instskip(NEXT) | instid1(VALU_DEP_2)
	v_dual_add_f32 v40, v40, v43 :: v_dual_add_f32 v37, v51, v37
	v_fmamk_f32 v46, v95, 0xbf7ba420, v44
	v_fmamk_f32 v51, v111, 0x3f06c442, v45
	v_mul_f32_e32 v154, 0xbf06c442, v146
	v_fma_f32 v43, 0xbf7ba420, v95, -v44
	v_fmamk_f32 v44, v114, 0xbf4c4adb, v158
	v_add_f32_e32 v42, v46, v42
	v_fmamk_f32 v46, v99, 0xbe8c1d8e, v48
	v_add_f32_e32 v39, v51, v39
	v_add_f32_e32 v41, v43, v41
	v_fma_f32 v43, 0xbe8c1d8e, v99, -v48
	v_fma_f32 v157, 0xbf59a7d5, v132, -v154
	v_add_f32_e32 v42, v46, v42
	v_dual_fmamk_f32 v46, v103, 0x3f6eb680, v53 :: v_dual_add_f32 v39, v44, v39
	s_delay_alu instid0(VALU_DEP_4) | instskip(SKIP_2) | instid1(VALU_DEP_4)
	v_add_f32_e32 v41, v43, v41
	v_fma_f32 v43, 0x3f6eb680, v103, -v53
	v_fma_f32 v53, 0x3ee437d1, v107, -v156
	v_add_f32_e32 v42, v46, v42
	v_fmamk_f32 v46, v107, 0x3ee437d1, v156
	v_add_f32_e32 v40, v47, v40
	v_dual_add_f32 v43, v43, v41 :: v_dual_mul_f32 v44, 0x3f4c4adb, v135
	s_delay_alu instid0(VALU_DEP_3) | instskip(SKIP_2) | instid1(VALU_DEP_4)
	v_dual_mul_f32 v47, 0x3f3d2fb0, v145 :: v_dual_add_f32 v42, v46, v42
	v_dual_mul_f32 v46, 0xbf06c442, v125 :: v_dual_fmac_f32 v45, 0xbf06c442, v111
	v_add_f32_e32 v38, v157, v38
	v_dual_add_f32 v43, v53, v43 :: v_dual_fmac_f32 v52, 0x3f6eb680, v102
	s_delay_alu instid0(VALU_DEP_3) | instskip(SKIP_1) | instid1(VALU_DEP_3)
	v_fmamk_f32 v157, v110, 0xbf59a7d5, v46
	v_mul_f32_e32 v53, 0x3f06c442, v56
	v_dual_fmamk_f32 v51, v127, 0xbf2c7751, v47 :: v_dual_add_f32 v40, v52, v40
	s_delay_alu instid0(VALU_DEP_3) | instskip(SKIP_1) | instid1(VALU_DEP_4)
	v_add_f32_e32 v42, v157, v42
	v_dual_mul_f32 v52, 0x3f2c7751, v146 :: v_dual_mul_f32 v157, 0x3f2c7751, v59
	v_fmamk_f32 v156, v95, 0xbf59a7d5, v53
	v_fmamk_f32 v48, v115, 0xbf1a4643, v44
	v_add_f32_e32 v40, v155, v40
	v_add_f32_e32 v41, v51, v39
	v_fmamk_f32 v39, v132, 0x3f3d2fb0, v52
	v_fma_f32 v52, 0x3f3d2fb0, v132, -v52
	v_dual_add_f32 v42, v48, v42 :: v_dual_fmac_f32 v47, 0x3f2c7751, v127
	v_mul_f32_e32 v48, 0xbf763a35, v55
	s_delay_alu instid0(VALU_DEP_1) | instskip(SKIP_3) | instid1(VALU_DEP_4)
	v_dual_fmamk_f32 v51, v91, 0xbe8c1d8e, v48 :: v_dual_add_f32 v40, v45, v40
	v_fma_f32 v45, 0xbf59a7d5, v110, -v46
	v_mul_f32_e32 v46, 0xbf763a35, v54
	v_add_f32_e32 v42, v39, v42
	v_add_f32_e32 v51, v51, v50
	s_delay_alu instid0(VALU_DEP_4) | instskip(NEXT) | instid1(VALU_DEP_4)
	v_add_f32_e32 v39, v45, v43
	v_fma_f32 v43, 0xbe8c1d8e, v90, -v46
	v_mul_f32_e32 v45, 0x3f06c442, v57
	s_delay_alu instid0(VALU_DEP_2) | instskip(SKIP_1) | instid1(VALU_DEP_3)
	v_add_f32_e32 v43, v43, v49
	v_fma_f32 v44, 0xbf1a4643, v115, -v44
	v_fma_f32 v155, 0xbf59a7d5, v94, -v45
	v_fmac_f32_e32 v158, 0x3f4c4adb, v114
	s_delay_alu instid0(VALU_DEP_3) | instskip(NEXT) | instid1(VALU_DEP_2)
	v_add_f32_e32 v44, v44, v39
	v_dual_add_f32 v39, v155, v43 :: v_dual_add_f32 v40, v158, v40
	v_dual_add_f32 v43, v156, v51 :: v_dual_mul_f32 v158, 0x3f2c7751, v58
	v_fma_f32 v51, 0x3f3d2fb0, v98, -v157
	v_fmac_f32_e32 v157, 0x3f3d2fb0, v98
	s_delay_alu instid0(VALU_DEP_3) | instskip(NEXT) | instid1(VALU_DEP_3)
	v_fmamk_f32 v155, v99, 0x3f3d2fb0, v158
	v_dual_add_f32 v39, v51, v39 :: v_dual_mul_f32 v156, 0xbf65296c, v82
	s_delay_alu instid0(VALU_DEP_2) | instskip(SKIP_1) | instid1(VALU_DEP_3)
	v_dual_fmac_f32 v46, 0xbe8c1d8e, v90 :: v_dual_add_f32 v43, v155, v43
	v_fmamk_f32 v155, v103, 0x3ee437d1, v159
	v_fma_f32 v51, 0x3ee437d1, v102, -v156
	s_delay_alu instid0(VALU_DEP_2) | instskip(NEXT) | instid1(VALU_DEP_2)
	v_dual_add_f32 v46, v46, v49 :: v_dual_add_f32 v43, v155, v43
	v_add_f32_e32 v51, v51, v39
	v_fma_f32 v155, 0xbf7ba420, v106, -v160
	v_add_f32_e32 v39, v47, v40
	v_add_f32_e32 v40, v52, v44
	v_mul_f32_e32 v47, 0x3dbcf732, v128
	v_fma_f32 v48, 0xbe8c1d8e, v91, -v48
	v_dual_add_f32 v44, v155, v51 :: v_dual_mul_f32 v51, 0x3f7ee86f, v125
	s_delay_alu instid0(VALU_DEP_3) | instskip(SKIP_3) | instid1(VALU_DEP_3)
	v_fmamk_f32 v52, v111, 0xbf7ee86f, v47
	v_fmac_f32_e32 v45, 0xbf59a7d5, v94
	v_fmac_f32_e32 v47, 0x3f7ee86f, v111
	;; [unrolled: 1-line block ×3, first 2 shown]
	v_dual_add_f32 v44, v52, v44 :: v_dual_add_f32 v45, v45, v46
	v_dual_add_f32 v43, v162, v43 :: v_dual_mul_f32 v162, 0x3f6eb680, v136
	v_add_f32_e32 v46, v48, v50
	v_fma_f32 v48, 0xbf59a7d5, v95, -v53
	s_delay_alu instid0(VALU_DEP_1) | instskip(NEXT) | instid1(VALU_DEP_1)
	v_dual_fmamk_f32 v155, v110, 0x3dbcf732, v51 :: v_dual_add_f32 v46, v48, v46
	v_dual_add_f32 v43, v155, v43 :: v_dual_fmac_f32 v156, 0x3ee437d1, v102
	v_fmamk_f32 v52, v114, 0x3eb8f4ab, v162
	v_fma_f32 v48, 0x3f3d2fb0, v99, -v158
	v_mul_f32_e32 v53, 0xbf1a4643, v145
	v_fma_f32 v158, 0xbf7ba420, v107, -v161
	s_delay_alu instid0(VALU_DEP_4) | instskip(SKIP_3) | instid1(VALU_DEP_1)
	v_dual_mul_f32 v161, 0xbeb8f4ab, v59 :: v_dual_add_f32 v44, v52, v44
	v_dual_mul_f32 v52, 0xbeb8f4ab, v135 :: v_dual_add_f32 v45, v157, v45
	v_add_f32_e32 v46, v48, v46
	v_fma_f32 v48, 0x3ee437d1, v103, -v159
	v_dual_fmamk_f32 v155, v115, 0x3f6eb680, v52 :: v_dual_add_f32 v46, v48, v46
	s_delay_alu instid0(VALU_DEP_1) | instskip(SKIP_1) | instid1(VALU_DEP_3)
	v_add_f32_e32 v43, v155, v43
	v_dual_add_f32 v45, v156, v45 :: v_dual_fmamk_f32 v156, v127, 0x3f4c4adb, v53
	v_add_f32_e32 v155, v158, v46
	s_delay_alu instid0(VALU_DEP_2) | instskip(NEXT) | instid1(VALU_DEP_3)
	v_dual_mul_f32 v157, 0xbf4c4adb, v146 :: v_dual_add_f32 v48, v160, v45
	v_dual_add_f32 v45, v156, v44 :: v_dual_mul_f32 v156, 0xbf4c4adb, v55
	s_delay_alu instid0(VALU_DEP_2) | instskip(SKIP_1) | instid1(VALU_DEP_4)
	v_fmamk_f32 v44, v132, 0xbf1a4643, v157
	v_fma_f32 v52, 0x3f6eb680, v115, -v52
	v_add_f32_e32 v47, v47, v48
	v_fma_f32 v48, 0x3dbcf732, v110, -v51
	v_fmac_f32_e32 v162, 0xbeb8f4ab, v114
	v_dual_mul_f32 v51, 0xbf4c4adb, v54 :: v_dual_add_f32 v46, v44, v43
	v_fma_f32 v157, 0xbf1a4643, v132, -v157
	s_delay_alu instid0(VALU_DEP_4) | instskip(NEXT) | instid1(VALU_DEP_4)
	v_add_f32_e32 v43, v48, v155
	v_add_f32_e32 v44, v162, v47
	s_delay_alu instid0(VALU_DEP_4) | instskip(SKIP_1) | instid1(VALU_DEP_4)
	v_fma_f32 v47, 0xbf1a4643, v90, -v51
	v_mul_f32_e32 v162, 0xbeb8f4ab, v58
	v_dual_fmac_f32 v51, 0xbf1a4643, v90 :: v_dual_add_f32 v52, v52, v43
	s_delay_alu instid0(VALU_DEP_3) | instskip(SKIP_2) | instid1(VALU_DEP_4)
	v_add_f32_e32 v47, v47, v49
	v_mul_f32_e32 v48, 0x3f763a35, v57
	v_fmamk_f32 v155, v91, 0xbf1a4643, v156
	v_add_f32_e32 v51, v51, v49
	v_fma_f32 v156, 0xbf1a4643, v91, -v156
	s_delay_alu instid0(VALU_DEP_4) | instskip(NEXT) | instid1(VALU_DEP_4)
	v_fma_f32 v159, 0xbe8c1d8e, v94, -v48
	v_dual_add_f32 v155, v155, v50 :: v_dual_mul_f32 v158, 0x3f763a35, v56
	s_delay_alu instid0(VALU_DEP_2) | instskip(SKIP_2) | instid1(VALU_DEP_4)
	v_add_f32_e32 v43, v159, v47
	v_fmamk_f32 v159, v99, 0x3f6eb680, v162
	v_fmac_f32_e32 v53, 0xbf4c4adb, v127
	v_fmamk_f32 v160, v95, 0xbe8c1d8e, v158
	s_delay_alu instid0(VALU_DEP_1) | instskip(SKIP_2) | instid1(VALU_DEP_3)
	v_dual_fmac_f32 v48, 0xbe8c1d8e, v94 :: v_dual_add_f32 v47, v160, v155
	v_fma_f32 v155, 0x3f6eb680, v98, -v161
	v_mul_f32_e32 v160, 0xbf06c442, v82
	v_dual_add_f32 v48, v48, v51 :: v_dual_fmac_f32 v161, 0x3f6eb680, v98
	s_delay_alu instid0(VALU_DEP_4) | instskip(NEXT) | instid1(VALU_DEP_4)
	v_add_f32_e32 v47, v159, v47
	v_add_f32_e32 v43, v155, v43
	s_delay_alu instid0(VALU_DEP_4) | instskip(SKIP_2) | instid1(VALU_DEP_3)
	v_fma_f32 v155, 0xbf59a7d5, v102, -v160
	v_fmamk_f32 v159, v103, 0xbf59a7d5, v163
	v_dual_add_f32 v51, v156, v50 :: v_dual_add_f32 v48, v161, v48
	v_dual_fmac_f32 v160, 0xbf59a7d5, v102 :: v_dual_add_f32 v155, v155, v43
	s_delay_alu instid0(VALU_DEP_3) | instskip(SKIP_4) | instid1(VALU_DEP_4)
	v_add_f32_e32 v47, v159, v47
	v_fma_f32 v159, 0x3dbcf732, v106, -v164
	v_mul_f32_e32 v165, 0x3f7ee86f, v117
	v_add_f32_e32 v43, v53, v44
	v_add_f32_e32 v44, v157, v52
	v_dual_mul_f32 v53, 0x3f3d2fb0, v128 :: v_dual_add_f32 v52, v159, v155
	s_delay_alu instid0(VALU_DEP_4) | instskip(SKIP_2) | instid1(VALU_DEP_4)
	v_fmamk_f32 v166, v107, 0x3dbcf732, v165
	v_dual_mul_f32 v155, 0xbf2c7751, v125 :: v_dual_add_f32 v48, v160, v48
	v_fmac_f32_e32 v164, 0x3dbcf732, v106
	v_fmamk_f32 v157, v111, 0x3f2c7751, v53
	s_delay_alu instid0(VALU_DEP_4) | instskip(NEXT) | instid1(VALU_DEP_3)
	v_dual_add_f32 v47, v166, v47 :: v_dual_mul_f32 v166, 0xbf7ba420, v136
	v_dual_fmamk_f32 v159, v110, 0x3f3d2fb0, v155 :: v_dual_add_f32 v48, v164, v48
	s_delay_alu instid0(VALU_DEP_3) | instskip(SKIP_1) | instid1(VALU_DEP_4)
	v_add_f32_e32 v52, v157, v52
	v_fma_f32 v156, 0xbe8c1d8e, v95, -v158
	v_fmamk_f32 v157, v114, 0x3e3c28d5, v166
	s_delay_alu instid0(VALU_DEP_4) | instskip(SKIP_1) | instid1(VALU_DEP_3)
	v_dual_add_f32 v47, v159, v47 :: v_dual_mul_f32 v158, 0x3ee437d1, v145
	v_mul_f32_e32 v161, 0x3f65296c, v146
	v_dual_add_f32 v51, v156, v51 :: v_dual_add_f32 v52, v157, v52
	v_dual_mul_f32 v157, 0xbe3c28d5, v135 :: v_dual_fmac_f32 v166, 0xbe3c28d5, v114
	v_fma_f32 v156, 0x3f6eb680, v99, -v162
	v_fmamk_f32 v160, v127, 0xbf65296c, v158
	v_fmac_f32_e32 v53, 0xbf2c7751, v111
	s_delay_alu instid0(VALU_DEP_4) | instskip(NEXT) | instid1(VALU_DEP_4)
	v_fmamk_f32 v159, v115, 0xbf7ba420, v157
	v_dual_mul_f32 v162, 0x3f65296c, v56 :: v_dual_add_f32 v51, v156, v51
	v_fma_f32 v156, 0xbf59a7d5, v103, -v163
	s_delay_alu instid0(VALU_DEP_4) | instskip(NEXT) | instid1(VALU_DEP_4)
	v_add_f32_e32 v53, v53, v48
	v_add_f32_e32 v159, v159, v47
	s_delay_alu instid0(VALU_DEP_4)
	v_dual_add_f32 v47, v160, v52 :: v_dual_fmamk_f32 v164, v95, 0x3ee437d1, v162
	v_fmamk_f32 v52, v132, 0x3ee437d1, v161
	v_fma_f32 v161, 0x3ee437d1, v132, -v161
	v_fma_f32 v155, 0x3f3d2fb0, v110, -v155
	;; [unrolled: 1-line block ×3, first 2 shown]
	v_fmac_f32_e32 v158, 0x3f65296c, v127
	v_add_f32_e32 v48, v52, v159
	v_mul_f32_e32 v159, 0xbf06c442, v55
	v_add_f32_e32 v51, v156, v51
	v_fma_f32 v156, 0x3dbcf732, v107, -v165
	v_add_f32_e32 v52, v166, v53
	v_mul_f32_e32 v166, 0xbf7ee86f, v58
	v_fmamk_f32 v160, v91, 0xbf59a7d5, v159
	v_mul_f32_e32 v165, 0xbf7ee86f, v59
	v_dual_add_f32 v51, v156, v51 :: v_dual_mul_f32 v156, 0xbf06c442, v54
	v_fma_f32 v162, 0x3ee437d1, v95, -v162
	s_delay_alu instid0(VALU_DEP_4) | instskip(NEXT) | instid1(VALU_DEP_3)
	v_add_f32_e32 v160, v160, v50
	v_dual_mul_f32 v56, 0x3eb8f4ab, v56 :: v_dual_add_f32 v51, v155, v51
	s_delay_alu instid0(VALU_DEP_4) | instskip(SKIP_2) | instid1(VALU_DEP_4)
	v_fma_f32 v53, 0xbf59a7d5, v90, -v156
	v_mul_f32_e32 v155, 0x3f65296c, v57
	v_fmac_f32_e32 v156, 0xbf59a7d5, v90
	v_dual_mul_f32 v58, 0xbf06c442, v58 :: v_dual_add_f32 v157, v157, v51
	s_delay_alu instid0(VALU_DEP_4) | instskip(NEXT) | instid1(VALU_DEP_4)
	v_add_f32_e32 v53, v53, v49
	v_fma_f32 v163, 0x3ee437d1, v94, -v155
	s_delay_alu instid0(VALU_DEP_4) | instskip(SKIP_2) | instid1(VALU_DEP_4)
	v_dual_add_f32 v156, v156, v49 :: v_dual_fmac_f32 v155, 0x3ee437d1, v94
	v_mul_f32_e32 v57, 0x3eb8f4ab, v57
	v_mul_f32_e32 v117, 0xbf4c4adb, v117
	v_add_f32_e32 v51, v163, v53
	v_add_f32_e32 v53, v164, v160
	v_fma_f32 v160, 0x3dbcf732, v98, -v165
	v_mul_f32_e32 v164, 0x3f4c4adb, v82
	v_fmamk_f32 v163, v99, 0x3dbcf732, v166
	v_dual_add_f32 v155, v155, v156 :: v_dual_mul_f32 v82, 0x3f2c7751, v82
	s_delay_alu instid0(VALU_DEP_4) | instskip(NEXT) | instid1(VALU_DEP_4)
	v_add_f32_e32 v51, v160, v51
	v_fma_f32 v160, 0xbf1a4643, v102, -v164
	v_fmac_f32_e32 v164, 0xbf1a4643, v102
	v_fmamk_f32 v171, v107, 0x3f6eb680, v169
	v_mul_f32_e32 v128, 0x3ee437d1, v128
	s_delay_alu instid0(VALU_DEP_4) | instskip(SKIP_3) | instid1(VALU_DEP_2)
	v_dual_mul_f32 v125, 0x3f65296c, v125 :: v_dual_add_f32 v160, v160, v51
	v_dual_add_f32 v51, v158, v52 :: v_dual_add_f32 v52, v161, v157
	v_fma_f32 v159, 0xbf59a7d5, v91, -v159
	v_mul_f32_e32 v161, 0x3f2c7751, v135
	v_add_f32_e32 v159, v159, v50
	v_add_f32_e32 v53, v163, v53
	s_delay_alu instid0(VALU_DEP_2) | instskip(SKIP_1) | instid1(VALU_DEP_2)
	v_dual_fmamk_f32 v163, v103, 0xbf1a4643, v167 :: v_dual_add_f32 v156, v162, v159
	v_fma_f32 v159, 0x3dbcf732, v99, -v166
	v_add_f32_e32 v53, v163, v53
	v_fma_f32 v163, 0x3f6eb680, v106, -v168
	v_mul_f32_e32 v162, 0xbe8c1d8e, v145
	s_delay_alu instid0(VALU_DEP_3) | instskip(NEXT) | instid1(VALU_DEP_3)
	v_dual_fmac_f32 v168, 0x3f6eb680, v106 :: v_dual_add_f32 v53, v171, v53
	v_add_f32_e32 v158, v163, v160
	v_fmamk_f32 v160, v111, 0x3e3c28d5, v170
	v_fmac_f32_e32 v170, 0xbe3c28d5, v111
	v_mul_f32_e32 v157, 0x3f3d2fb0, v136
	v_fmamk_f32 v163, v110, 0xbf7ba420, v172
	v_mul_f32_e32 v136, 0xbe8c1d8e, v136
	v_add_f32_e32 v158, v160, v158
	v_fmac_f32_e32 v165, 0x3dbcf732, v98
	s_delay_alu instid0(VALU_DEP_4) | instskip(SKIP_1) | instid1(VALU_DEP_2)
	v_dual_fmamk_f32 v160, v114, 0xbf2c7751, v157 :: v_dual_add_f32 v53, v163, v53
	v_mul_f32_e32 v163, 0xbf763a35, v146
	v_add_f32_e32 v158, v160, v158
	v_fmamk_f32 v160, v115, 0x3f3d2fb0, v161
	s_delay_alu instid0(VALU_DEP_1) | instskip(SKIP_4) | instid1(VALU_DEP_3)
	v_dual_add_f32 v160, v160, v53 :: v_dual_add_f32 v53, v165, v155
	v_add_f32_e32 v155, v159, v156
	v_fmamk_f32 v159, v127, 0x3f763a35, v162
	v_fma_f32 v156, 0xbf1a4643, v103, -v167
	v_fmac_f32_e32 v162, 0xbf763a35, v127
	v_dual_add_f32 v164, v164, v53 :: v_dual_add_f32 v53, v159, v158
	v_fmamk_f32 v158, v132, 0xbe8c1d8e, v163
	s_delay_alu instid0(VALU_DEP_4) | instskip(NEXT) | instid1(VALU_DEP_3)
	v_add_f32_e32 v155, v156, v155
	v_dual_add_f32 v159, v168, v164 :: v_dual_mul_f32 v164, 0xbe3c28d5, v54
	s_delay_alu instid0(VALU_DEP_3) | instskip(SKIP_1) | instid1(VALU_DEP_3)
	v_add_f32_e32 v54, v158, v160
	v_fma_f32 v156, 0x3f6eb680, v107, -v169
	v_dual_add_f32 v158, v170, v159 :: v_dual_fmac_f32 v157, 0x3f2c7751, v114
	v_mul_f32_e32 v159, 0xbe3c28d5, v55
	s_delay_alu instid0(VALU_DEP_3) | instskip(SKIP_1) | instid1(VALU_DEP_4)
	v_add_f32_e32 v155, v156, v155
	v_fma_f32 v156, 0xbf7ba420, v110, -v172
	v_add_f32_e32 v55, v157, v158
	v_fma_f32 v158, 0x3f6eb680, v94, -v57
	s_delay_alu instid0(VALU_DEP_3) | instskip(SKIP_2) | instid1(VALU_DEP_2)
	v_dual_fmamk_f32 v160, v91, 0xbf7ba420, v159 :: v_dual_add_f32 v155, v156, v155
	v_fma_f32 v156, 0xbf7ba420, v90, -v164
	v_fmac_f32_e32 v164, 0xbf7ba420, v90
	v_add_f32_e32 v156, v156, v49
	s_delay_alu instid0(VALU_DEP_1) | instskip(SKIP_4) | instid1(VALU_DEP_4)
	v_add_f32_e32 v156, v158, v156
	v_fma_f32 v157, 0x3f3d2fb0, v115, -v161
	v_fmamk_f32 v158, v95, 0x3f6eb680, v56
	v_fma_f32 v56, 0x3f6eb680, v95, -v56
	v_fma_f32 v161, 0xbe8c1d8e, v132, -v163
	v_add_f32_e32 v155, v157, v155
	v_add_f32_e32 v157, v160, v50
	s_delay_alu instid0(VALU_DEP_1) | instskip(SKIP_1) | instid1(VALU_DEP_2)
	v_dual_add_f32 v157, v158, v157 :: v_dual_fmamk_f32 v158, v99, 0xbf59a7d5, v58
	v_fma_f32 v58, 0xbf59a7d5, v99, -v58
	v_dual_add_f32 v157, v158, v157 :: v_dual_fmamk_f32 v158, v103, 0x3f3d2fb0, v60
	v_dual_add_f32 v55, v162, v55 :: v_dual_add_f32 v162, v164, v49
	s_delay_alu instid0(VALU_DEP_2) | instskip(SKIP_3) | instid1(VALU_DEP_3)
	v_add_f32_e32 v157, v158, v157
	v_fma_f32 v158, 0xbf7ba420, v91, -v159
	v_fma_f32 v159, 0xbf1a4643, v106, -v118
	v_fmac_f32_e32 v118, 0xbf1a4643, v106
	v_add_f32_e32 v158, v158, v50
	s_delay_alu instid0(VALU_DEP_1) | instskip(SKIP_2) | instid1(VALU_DEP_3)
	v_dual_add_f32 v56, v56, v158 :: v_dual_mul_f32 v59, 0xbf06c442, v59
	v_fmamk_f32 v158, v111, 0xbf65296c, v128
	v_fmac_f32_e32 v128, 0x3f65296c, v111
	v_add_f32_e32 v56, v58, v56
	s_delay_alu instid0(VALU_DEP_4) | instskip(SKIP_2) | instid1(VALU_DEP_3)
	v_fma_f32 v160, 0xbf59a7d5, v98, -v59
	v_fma_f32 v58, 0x3f3d2fb0, v103, -v60
	v_fmamk_f32 v60, v110, 0x3ee437d1, v125
	v_add_f32_e32 v156, v160, v156
	v_fma_f32 v160, 0x3f3d2fb0, v102, -v82
	s_delay_alu instid0(VALU_DEP_4) | instskip(SKIP_2) | instid1(VALU_DEP_4)
	v_add_f32_e32 v56, v58, v56
	v_fmac_f32_e32 v82, 0x3f3d2fb0, v102
	v_fma_f32 v58, 0xbf1a4643, v107, -v117
	v_dual_fmac_f32 v59, 0xbf59a7d5, v98 :: v_dual_add_f32 v156, v160, v156
	v_fmamk_f32 v160, v107, 0xbf1a4643, v117
	s_delay_alu instid0(VALU_DEP_3) | instskip(SKIP_1) | instid1(VALU_DEP_3)
	v_add_f32_e32 v56, v58, v56
	v_fma_f32 v58, 0x3ee437d1, v110, -v125
	v_dual_add_f32 v156, v159, v156 :: v_dual_add_f32 v157, v160, v157
	s_delay_alu instid0(VALU_DEP_2) | instskip(NEXT) | instid1(VALU_DEP_1)
	v_dual_fmac_f32 v57, 0x3f6eb680, v94 :: v_dual_add_f32 v56, v58, v56
	v_dual_add_f32 v60, v60, v157 :: v_dual_add_f32 v57, v57, v162
	s_delay_alu instid0(VALU_DEP_1) | instskip(NEXT) | instid1(VALU_DEP_4)
	v_add_f32_e32 v57, v59, v57
	v_add_f32_e32 v59, v158, v156
	v_fmamk_f32 v156, v114, 0x3f763a35, v136
	s_delay_alu instid0(VALU_DEP_3) | instskip(SKIP_1) | instid1(VALU_DEP_3)
	v_dual_fmac_f32 v136, 0xbf763a35, v114 :: v_dual_add_f32 v57, v82, v57
	v_mul_f32_e32 v82, 0xbf763a35, v135
	v_add_f32_e32 v59, v156, v59
	s_delay_alu instid0(VALU_DEP_2) | instskip(NEXT) | instid1(VALU_DEP_4)
	v_fmamk_f32 v117, v115, 0xbe8c1d8e, v82
	v_add_f32_e32 v57, v118, v57
	v_fma_f32 v58, 0xbe8c1d8e, v115, -v82
	s_delay_alu instid0(VALU_DEP_2) | instskip(NEXT) | instid1(VALU_DEP_1)
	v_dual_add_f32 v60, v117, v60 :: v_dual_add_f32 v57, v128, v57
	v_dual_mul_f32 v125, 0x3f7ee86f, v146 :: v_dual_add_f32 v128, v136, v57
	s_delay_alu instid0(VALU_DEP_1) | instskip(NEXT) | instid1(VALU_DEP_4)
	v_dual_mul_f32 v118, 0x3dbcf732, v145 :: v_dual_fmamk_f32 v117, v132, 0x3dbcf732, v125
	v_add_f32_e32 v135, v58, v56
	v_fma_f32 v125, 0x3dbcf732, v132, -v125
	s_delay_alu instid0(VALU_DEP_3)
	v_fmamk_f32 v82, v127, 0xbf7ee86f, v118
	v_fmac_f32_e32 v118, 0x3f7ee86f, v127
	v_add_f32_e32 v56, v161, v155
	v_add_f32_e32 v58, v117, v60
	v_add_f32_e32 v60, v125, v135
	v_add_f32_e32 v57, v82, v59
	v_add_f32_e32 v59, v118, v128
	v_mul_lo_u16 v82, v78, 17
	s_and_saveexec_b32 s4, vcc_lo
	s_cbranch_execz .LBB0_7
; %bb.6:
	v_dual_mul_f32 v117, 0x3f6eb680, v90 :: v_dual_mul_f32 v118, 0x3f6eb680, v91
	v_dual_mul_f32 v125, 0x3f3d2fb0, v90 :: v_dual_mul_f32 v128, 0x3f3d2fb0, v91
	;; [unrolled: 1-line block ×6, first 2 shown]
	s_delay_alu instid0(VALU_DEP_4)
	v_add_f32_e32 v91, v147, v91
	v_dual_mul_f32 v155, 0x3ee437d1, v98 :: v_dual_mul_f32 v156, 0x3ee437d1, v99
	v_dual_mul_f32 v157, 0xbf1a4643, v98 :: v_dual_mul_f32 v158, 0xbf1a4643, v99
	;; [unrolled: 1-line block ×4, first 2 shown]
	v_dual_mul_f32 v147, 0xbf59a7d5, v106 :: v_dual_sub_f32 v90, v90, v139
	v_mul_f32_e32 v106, 0x3f3d2fb0, v106
	v_add_f32_e32 v91, v91, v50
	v_dual_add_f32 v95, v148, v95 :: v_dual_mul_f32 v166, 0xbf1a4643, v110
	v_dual_mul_f32 v159, 0x3dbcf732, v102 :: v_dual_mul_f32 v160, 0x3dbcf732, v103
	v_dual_mul_f32 v161, 0xbf7ba420, v102 :: v_dual_mul_f32 v162, 0xbf7ba420, v103
	;; [unrolled: 1-line block ×3, first 2 shown]
	v_mul_f32_e32 v148, 0xbf4c4adb, v111
	v_dual_mul_f32 v168, 0xbe8c1d8e, v110 :: v_dual_add_f32 v91, v95, v91
	v_dual_add_f32 v95, v149, v99 :: v_dual_mul_f32 v110, 0x3f6eb680, v110
	v_dual_mul_f32 v165, 0xbf59a7d5, v107 :: v_dual_add_f32 v90, v90, v49
	v_dual_mul_f32 v107, 0x3f3d2fb0, v107 :: v_dual_sub_f32 v94, v94, v142
	s_delay_alu instid0(VALU_DEP_3)
	v_add_f32_e32 v91, v95, v91
	v_add_f32_e32 v95, v150, v103
	v_mul_f32_e32 v167, 0x3f763a35, v111
	v_mul_f32_e32 v103, 0x3f65296c, v114
	v_add_f32_e32 v90, v94, v90
	v_sub_f32_e32 v94, v98, v143
	v_mul_f32_e32 v99, 0xbeb8f4ab, v111
	v_dual_mul_f32 v111, 0xbf06c442, v114 :: v_dual_mul_f32 v98, 0xbf06c442, v127
	v_dual_mul_f32 v114, 0xbf7ee86f, v114 :: v_dual_add_f32 v91, v95, v91
	v_add_f32_e32 v95, v152, v107
	v_mul_f32_e32 v149, 0xbf59a7d5, v115
	v_mul_f32_e32 v150, 0x3ee437d1, v115
	v_dual_mul_f32 v115, 0x3dbcf732, v115 :: v_dual_sub_f32 v102, v102, v141
	s_delay_alu instid0(VALU_DEP_4) | instskip(SKIP_3) | instid1(VALU_DEP_3)
	v_add_f32_e32 v91, v95, v91
	v_dual_add_f32 v95, v110, v151 :: v_dual_mul_f32 v110, 0x3f6eb680, v132
	v_mul_f32_e32 v152, 0x3eb8f4ab, v127
	v_dual_add_f32 v94, v94, v90 :: v_dual_mul_f32 v107, 0xbe3c28d5, v127
	v_add_f32_e32 v91, v95, v91
	v_add_f32_e32 v95, v115, v153
	;; [unrolled: 1-line block ×3, first 2 shown]
	v_dual_add_f32 v127, v131, v146 :: v_dual_add_f32 v32, v32, v49
	v_add_f32_e32 v33, v33, v50
	s_delay_alu instid0(VALU_DEP_4) | instskip(SKIP_4) | instid1(VALU_DEP_3)
	v_add_f32_e32 v91, v95, v91
	v_mul_f32_e32 v139, 0xbf7ba420, v132
	v_dual_mul_f32 v132, 0xbf59a7d5, v132 :: v_dual_add_f32 v115, v115, v50
	v_add_f32_e32 v32, v34, v32
	v_dual_sub_f32 v34, v112, v167 :: v_dual_sub_f32 v89, v125, v89
	v_add_f32_e32 v95, v132, v154
	s_delay_alu instid0(VALU_DEP_3) | instskip(NEXT) | instid1(VALU_DEP_2)
	v_dual_add_f32 v33, v35, v33 :: v_dual_add_f32 v28, v28, v32
	v_dual_add_f32 v90, v95, v91 :: v_dual_add_f32 v91, v102, v94
	v_sub_f32_e32 v94, v106, v137
	v_add_f32_e32 v102, v124, v158
	s_delay_alu instid0(VALU_DEP_4) | instskip(SKIP_1) | instid1(VALU_DEP_4)
	v_add_f32_e32 v30, v30, v28
	v_sub_f32_e32 v106, v145, v119
	v_add_f32_e32 v91, v94, v91
	v_sub_f32_e32 v94, v138, v99
	v_add_f32_e32 v95, v127, v115
	v_add_f32_e32 v99, v126, v162
	;; [unrolled: 1-line block ×3, first 2 shown]
	v_sub_f32_e32 v30, v117, v83
	v_add_f32_e32 v91, v94, v91
	v_dual_add_f32 v95, v102, v95 :: v_dual_sub_f32 v94, v140, v114
	s_delay_alu instid0(VALU_DEP_4) | instskip(SKIP_1) | instid1(VALU_DEP_3)
	v_add_f32_e32 v16, v18, v16
	v_sub_f32_e32 v102, v157, v121
	v_dual_add_f32 v18, v86, v136 :: v_dual_add_f32 v95, v99, v95
	s_delay_alu instid0(VALU_DEP_3) | instskip(SKIP_1) | instid1(VALU_DEP_2)
	v_dual_add_f32 v99, v130, v165 :: v_dual_add_f32 v12, v12, v16
	v_dual_add_f32 v91, v94, v91 :: v_dual_sub_f32 v94, v144, v98
	v_dual_add_f32 v98, v168, v133 :: v_dual_add_f32 v95, v99, v95
	s_delay_alu instid0(VALU_DEP_3) | instskip(SKIP_2) | instid1(VALU_DEP_4)
	v_dual_add_f32 v29, v29, v33 :: v_dual_add_f32 v12, v14, v12
	v_sub_f32_e32 v99, v147, v123
	v_sub_f32_e32 v14, v155, v87
	v_add_f32_e32 v95, v98, v95
	v_add_f32_e32 v98, v150, v116
	v_dual_add_f32 v12, v24, v12 :: v_dual_add_f32 v89, v89, v49
	v_add_f32_e32 v29, v31, v29
	v_sub_f32_e32 v33, v113, v103
	s_delay_alu instid0(VALU_DEP_4) | instskip(NEXT) | instid1(VALU_DEP_4)
	v_add_f32_e32 v35, v98, v95
	v_add_f32_e32 v12, v26, v12
	v_add_f32_e32 v89, v106, v89
	s_delay_alu instid0(VALU_DEP_2) | instskip(NEXT) | instid1(VALU_DEP_2)
	v_dual_add_f32 v95, v110, v134 :: v_dual_add_f32 v12, v20, v12
	v_dual_add_f32 v89, v102, v89 :: v_dual_sub_f32 v102, v161, v122
	s_delay_alu instid0(VALU_DEP_2) | instskip(NEXT) | instid1(VALU_DEP_2)
	v_dual_add_f32 v17, v17, v29 :: v_dual_add_f32 v12, v22, v12
	v_add_f32_e32 v89, v102, v89
	s_delay_alu instid0(VALU_DEP_2) | instskip(NEXT) | instid1(VALU_DEP_3)
	v_add_f32_e32 v17, v19, v17
	v_dual_add_f32 v19, v30, v49 :: v_dual_add_f32 v8, v8, v12
	v_sub_f32_e32 v30, v135, v85
	s_delay_alu instid0(VALU_DEP_4) | instskip(NEXT) | instid1(VALU_DEP_4)
	v_add_f32_e32 v89, v99, v89
	v_add_f32_e32 v13, v13, v17
	;; [unrolled: 1-line block ×6, first 2 shown]
	s_delay_alu instid0(VALU_DEP_3) | instskip(NEXT) | instid1(VALU_DEP_2)
	v_dual_add_f32 v13, v15, v13 :: v_dual_add_f32 v8, v4, v8
	v_dual_add_f32 v31, v33, v32 :: v_dual_add_f32 v32, v84, v118
	s_delay_alu instid0(VALU_DEP_2) | instskip(NEXT) | instid1(VALU_DEP_1)
	v_dual_add_f32 v13, v25, v13 :: v_dual_add_f32 v6, v6, v8
	v_dual_add_f32 v32, v32, v50 :: v_dual_add_f32 v13, v27, v13
	s_delay_alu instid0(VALU_DEP_1) | instskip(NEXT) | instid1(VALU_DEP_2)
	v_add_f32_e32 v16, v18, v32
	v_dual_add_f32 v18, v30, v19 :: v_dual_add_f32 v13, v21, v13
	s_delay_alu instid0(VALU_DEP_2) | instskip(SKIP_1) | instid1(VALU_DEP_3)
	v_add_f32_e32 v15, v17, v16
	v_add_f32_e32 v16, v93, v160
	v_dual_add_f32 v14, v14, v18 :: v_dual_sub_f32 v17, v159, v92
	v_add_f32_e32 v89, v94, v91
	v_add_f32_e32 v13, v23, v13
	s_delay_alu instid0(VALU_DEP_4) | instskip(NEXT) | instid1(VALU_DEP_4)
	v_dual_add_f32 v15, v16, v15 :: v_dual_add_f32 v16, v97, v164
	v_dual_add_f32 v14, v17, v14 :: v_dual_sub_f32 v17, v163, v96
	v_sub_f32_e32 v29, v120, v152
	s_delay_alu instid0(VALU_DEP_4) | instskip(NEXT) | instid1(VALU_DEP_4)
	v_add_f32_e32 v9, v9, v13
	v_dual_add_f32 v15, v16, v15 :: v_dual_add_f32 v16, v166, v101
	s_delay_alu instid0(VALU_DEP_4) | instskip(SKIP_1) | instid1(VALU_DEP_4)
	v_dual_add_f32 v14, v17, v14 :: v_dual_sub_f32 v17, v100, v148
	v_sub_f32_e32 v13, v104, v111
	v_add_f32_e32 v9, v11, v9
	s_delay_alu instid0(VALU_DEP_4) | instskip(NEXT) | instid1(VALU_DEP_4)
	v_dual_add_f32 v15, v16, v15 :: v_dual_add_f32 v16, v149, v105
	v_add_f32_e32 v12, v17, v14
	s_delay_alu instid0(VALU_DEP_3) | instskip(SKIP_1) | instid1(VALU_DEP_3)
	v_dual_add_f32 v28, v95, v35 :: v_dual_add_f32 v9, v5, v9
	v_add_f32_e32 v27, v29, v31
	v_dual_add_f32 v14, v16, v15 :: v_dual_add_f32 v11, v13, v12
	v_dual_sub_f32 v12, v108, v107 :: v_dual_and_b32 v13, 0xffff, v82
	s_delay_alu instid0(VALU_DEP_4) | instskip(NEXT) | instid1(VALU_DEP_2)
	v_add_f32_e32 v7, v7, v9
	v_dual_add_f32 v5, v10, v14 :: v_dual_add_f32 v4, v12, v11
	s_delay_alu instid0(VALU_DEP_3)
	v_add_lshl_u32 v8, v81, v13, 3
	ds_store_2addr_b64 v8, v[6:7], v[4:5] offset1:1
	ds_store_2addr_b64 v8, v[27:28], v[89:90] offset0:2 offset1:3
	ds_store_2addr_b64 v8, v[41:42], v[45:46] offset0:4 offset1:5
	;; [unrolled: 1-line block ×7, first 2 shown]
	ds_store_b64 v8, v[2:3] offset:128
.LBB0_7:
	s_wait_alu 0xfffe
	s_or_b32 exec_lo, exec_lo, s4
	v_mad_co_u64_u32 v[8:9], null, v78, 24, s[0:1]
	s_load_b128 s[0:3], s[2:3], 0x0
	global_wb scope:SCOPE_SE
	s_wait_dscnt 0x0
	s_wait_kmcnt 0x0
	s_barrier_signal -1
	s_barrier_wait -1
	global_inv scope:SCOPE_SE
	v_add_lshl_u32 v29, v81, v78, 3
	s_clause 0x1
	global_load_b128 v[4:7], v[8:9], off
	global_load_b64 v[16:17], v[8:9], off offset:16
	ds_load_2addr_b64 v[8:11], v29 offset1:17
	ds_load_2addr_b64 v[12:15], v29 offset0:34 offset1:51
	v_lshl_add_u32 v28, v78, 3, v80
	s_wait_loadcnt_dscnt 0x100
	v_dual_mul_f32 v18, v11, v5 :: v_dual_mul_f32 v21, v12, v7
	v_dual_mul_f32 v19, v10, v5 :: v_dual_mul_f32 v20, v13, v7
	s_wait_loadcnt 0x0
	v_mul_f32_e32 v22, v15, v17
	s_delay_alu instid0(VALU_DEP_3) | instskip(SKIP_4) | instid1(VALU_DEP_1)
	v_fma_f32 v10, v10, v4, -v18
	v_fmac_f32_e32 v21, v13, v6
	v_fmac_f32_e32 v19, v11, v4
	v_fma_f32 v11, v12, v6, -v20
	v_fma_f32 v12, v14, v16, -v22
	v_dual_sub_f32 v11, v8, v11 :: v_dual_sub_f32 v12, v10, v12
	v_mul_f32_e32 v23, v14, v17
	s_delay_alu instid0(VALU_DEP_2) | instskip(NEXT) | instid1(VALU_DEP_3)
	v_fma_f32 v18, v8, 2.0, -v11
	v_fma_f32 v10, v10, 2.0, -v12
	s_delay_alu instid0(VALU_DEP_3) | instskip(NEXT) | instid1(VALU_DEP_1)
	v_fmac_f32_e32 v23, v15, v16
	v_dual_sub_f32 v13, v9, v21 :: v_dual_sub_f32 v14, v19, v23
	s_delay_alu instid0(VALU_DEP_1) | instskip(SKIP_1) | instid1(VALU_DEP_3)
	v_fma_f32 v20, v9, 2.0, -v13
	v_add_f32_e32 v9, v13, v12
	v_fma_f32 v15, v19, 2.0, -v14
	v_sub_f32_e32 v8, v11, v14
	v_sub_f32_e32 v14, v18, v10
	s_delay_alu instid0(VALU_DEP_4) | instskip(NEXT) | instid1(VALU_DEP_4)
	v_fma_f32 v13, v13, 2.0, -v9
	v_sub_f32_e32 v15, v20, v15
	s_delay_alu instid0(VALU_DEP_4) | instskip(NEXT) | instid1(VALU_DEP_4)
	v_fma_f32 v12, v11, 2.0, -v8
	v_fma_f32 v18, v18, 2.0, -v14
	s_delay_alu instid0(VALU_DEP_3)
	v_fma_f32 v19, v20, 2.0, -v15
	ds_store_2addr_b64 v28, v[14:15], v[8:9] offset0:34 offset1:51
	ds_store_2addr_b64 v28, v[18:19], v[12:13] offset1:17
	global_wb scope:SCOPE_SE
	s_wait_dscnt 0x0
	s_barrier_signal -1
	s_barrier_wait -1
	global_inv scope:SCOPE_SE
	s_and_saveexec_b32 s6, vcc_lo
	s_cbranch_execz .LBB0_9
; %bb.8:
	global_load_b64 v[10:11], v61, s[8:9] offset:544
	s_add_nc_u64 s[4:5], s[8:9], 0x220
	s_clause 0xf
	global_load_b64 v[34:35], v61, s[4:5] offset:32
	global_load_b64 v[49:50], v61, s[4:5] offset:64
	;; [unrolled: 1-line block ×16, first 2 shown]
	ds_load_b64 v[20:21], v79
	s_wait_loadcnt_dscnt 0x1000
	v_mul_f32_e32 v22, v21, v11
	v_mul_f32_e32 v23, v20, v11
	s_delay_alu instid0(VALU_DEP_2) | instskip(NEXT) | instid1(VALU_DEP_2)
	v_fma_f32 v22, v20, v10, -v22
	v_fmac_f32_e32 v23, v21, v10
	ds_store_b64 v79, v[22:23]
	ds_load_2addr_b64 v[20:23], v28 offset0:4 offset1:8
	ds_load_2addr_b64 v[24:27], v28 offset0:12 offset1:16
	;; [unrolled: 1-line block ×8, first 2 shown]
	s_wait_loadcnt_dscnt 0xf07
	v_mul_f32_e32 v10, v21, v35
	v_mul_f32_e32 v11, v20, v35
	s_wait_loadcnt 0xe
	v_mul_f32_e32 v81, v23, v50
	v_mul_f32_e32 v35, v22, v50
	s_wait_loadcnt_dscnt 0xd06
	v_mul_f32_e32 v131, v25, v104
	v_mul_f32_e32 v50, v24, v104
	s_wait_loadcnt 0xc
	v_mul_f32_e32 v132, v27, v106
	s_wait_loadcnt_dscnt 0xb05
	v_dual_mul_f32 v104, v26, v106 :: v_dual_mul_f32 v133, v31, v108
	s_wait_loadcnt 0xa
	v_mul_f32_e32 v134, v33, v110
	v_dual_mul_f32 v106, v30, v108 :: v_dual_fmac_f32 v11, v21, v34
	v_mul_f32_e32 v108, v32, v110
	s_wait_loadcnt_dscnt 0x804
	v_dual_mul_f32 v135, v84, v112 :: v_dual_mul_f32 v136, v86, v114
	v_mul_f32_e32 v110, v83, v112
	s_wait_loadcnt_dscnt 0x703
	v_dual_mul_f32 v112, v85, v114 :: v_dual_mul_f32 v137, v88, v116
	;; [unrolled: 3-line block ×3, first 2 shown]
	s_wait_loadcnt_dscnt 0x301
	v_dual_mul_f32 v116, v89, v118 :: v_dual_mul_f32 v141, v96, v124
	v_mul_f32_e32 v118, v91, v120
	s_wait_loadcnt_dscnt 0x100
	v_dual_mul_f32 v140, v94, v122 :: v_dual_mul_f32 v143, v100, v128
	v_dual_mul_f32 v120, v93, v122 :: v_dual_fmac_f32 v35, v23, v49
	v_mul_f32_e32 v122, v95, v124
	v_mul_f32_e32 v142, v98, v126
	;; [unrolled: 1-line block ×4, first 2 shown]
	s_wait_loadcnt 0x0
	v_mul_f32_e32 v144, v102, v130
	v_mul_f32_e32 v128, v101, v130
	v_fma_f32 v10, v20, v34, -v10
	v_fma_f32 v34, v22, v49, -v81
	;; [unrolled: 1-line block ×3, first 2 shown]
	v_fmac_f32_e32 v50, v25, v103
	v_fma_f32 v103, v26, v105, -v132
	v_fmac_f32_e32 v104, v27, v105
	v_fma_f32 v105, v30, v107, -v133
	;; [unrolled: 2-line block ×13, first 2 shown]
	v_fmac_f32_e32 v128, v102, v129
	ds_store_2addr_b64 v28, v[10:11], v[34:35] offset0:4 offset1:8
	ds_store_2addr_b64 v28, v[49:50], v[103:104] offset0:12 offset1:16
	;; [unrolled: 1-line block ×8, first 2 shown]
.LBB0_9:
	s_wait_alu 0xfffe
	s_or_b32 exec_lo, exec_lo, s6
	global_wb scope:SCOPE_SE
	s_wait_dscnt 0x0
	s_barrier_signal -1
	s_barrier_wait -1
	global_inv scope:SCOPE_SE
	s_and_saveexec_b32 s4, vcc_lo
	s_cbranch_execz .LBB0_11
; %bb.10:
	ds_load_2addr_b64 v[20:23], v28 offset0:20 offset1:24
	ds_load_2addr_b64 v[24:27], v28 offset0:28 offset1:32
	ds_load_2addr_b64 v[0:3], v28 offset0:60 offset1:64
	ds_load_2addr_b64 v[30:33], v28 offset0:52 offset1:56
	ds_load_2addr_b64 v[41:44], v28 offset0:44 offset1:48
	ds_load_2addr_b64 v[83:86], v28 offset0:36 offset1:40
	ds_load_b64 v[18:19], v79
	ds_load_2addr_b64 v[12:15], v28 offset0:4 offset1:8
	ds_load_2addr_b64 v[8:11], v28 offset0:12 offset1:16
	s_wait_dscnt 0x8
	v_dual_mov_b32 v48, v23 :: v_dual_mov_b32 v47, v22
	s_wait_dscnt 0x7
	v_dual_mov_b32 v54, v25 :: v_dual_mov_b32 v53, v24
	v_dual_mov_b32 v58, v27 :: v_dual_mov_b32 v57, v26
	s_wait_dscnt 0x5
	v_dual_mov_b32 v38, v33 :: v_dual_mov_b32 v37, v32
	v_dual_mov_b32 v40, v31 :: v_dual_mov_b32 v39, v30
	s_wait_dscnt 0x4
	v_dual_mov_b32 v52, v42 :: v_dual_mov_b32 v51, v41
	s_wait_dscnt 0x3
	v_dual_mov_b32 v56, v86 :: v_dual_mov_b32 v55, v85
	v_dual_mov_b32 v60, v84 :: v_dual_mov_b32 v59, v83
	;; [unrolled: 1-line block ×3, first 2 shown]
	s_wait_dscnt 0x0
	v_dual_mov_b32 v41, v10 :: v_dual_mov_b32 v42, v11
.LBB0_11:
	s_wait_alu 0xfffe
	s_or_b32 exec_lo, exec_lo, s4
	global_wb scope:SCOPE_SE
	s_barrier_signal -1
	s_barrier_wait -1
	global_inv scope:SCOPE_SE
	s_and_saveexec_b32 s4, vcc_lo
	s_cbranch_execz .LBB0_13
; %bb.12:
	v_dual_add_f32 v135, v3, v13 :: v_dual_add_f32 v132, v1, v15
	v_sub_f32_e32 v35, v12, v2
	v_dual_sub_f32 v31, v14, v0 :: v_dual_sub_f32 v32, v8, v37
	s_delay_alu instid0(VALU_DEP_3) | instskip(SKIP_2) | instid1(VALU_DEP_3)
	v_dual_mul_f32 v92, 0xbf7ba420, v135 :: v_dual_add_f32 v129, v38, v9
	v_add_f32_e32 v130, v40, v42
	v_dual_sub_f32 v30, v41, v39 :: v_dual_mul_f32 v95, 0x3f6eb680, v132
	v_dual_fmamk_f32 v10, v35, 0x3e3c28d5, v92 :: v_dual_add_f32 v133, v44, v46
	s_delay_alu instid0(VALU_DEP_4) | instskip(NEXT) | instid1(VALU_DEP_3)
	v_dual_sub_f32 v33, v45, v43 :: v_dual_mul_f32 v96, 0xbf59a7d5, v129
	v_dual_fmamk_f32 v11, v31, 0xbeb8f4ab, v95 :: v_dual_add_f32 v34, v48, v52
	s_delay_alu instid0(VALU_DEP_3) | instskip(NEXT) | instid1(VALU_DEP_3)
	v_dual_add_f32 v10, v19, v10 :: v_dual_sub_f32 v157, v13, v3
	v_dual_sub_f32 v125, v47, v51 :: v_dual_fmamk_f32 v20, v32, 0x3f06c442, v96
	v_dual_mul_f32 v97, 0x3f3d2fb0, v130 :: v_dual_sub_f32 v134, v53, v55
	s_delay_alu instid0(VALU_DEP_3) | instskip(NEXT) | instid1(VALU_DEP_4)
	v_dual_add_f32 v10, v11, v10 :: v_dual_mul_f32 v103, 0xbf1a4643, v133
	v_dual_add_f32 v50, v2, v12 :: v_dual_mul_f32 v99, 0xbe3c28d5, v157
	s_delay_alu instid0(VALU_DEP_2) | instskip(SKIP_1) | instid1(VALU_DEP_4)
	v_dual_fmamk_f32 v11, v30, 0xbf2c7751, v97 :: v_dual_add_f32 v10, v20, v10
	v_dual_mul_f32 v98, 0x3f65296c, v125 :: v_dual_add_f32 v83, v0, v14
	v_dual_fmamk_f32 v20, v33, 0x3f4c4adb, v103 :: v_dual_sub_f32 v167, v15, v1
	s_delay_alu instid0(VALU_DEP_3) | instskip(NEXT) | instid1(VALU_DEP_3)
	v_dual_add_f32 v10, v11, v10 :: v_dual_fmamk_f32 v21, v50, 0xbf7ba420, v99
	v_fma_f32 v11, 0x3ee437d1, v34, -v98
	s_delay_alu instid0(VALU_DEP_3) | instskip(SKIP_1) | instid1(VALU_DEP_4)
	v_dual_add_f32 v49, v54, v56 :: v_dual_mul_f32 v102, 0x3eb8f4ab, v167
	v_sub_f32_e32 v171, v9, v38
	v_add_f32_e32 v10, v20, v10
	v_dual_mul_f32 v93, 0xbf763a35, v134 :: v_dual_add_f32 v20, v18, v21
	s_delay_alu instid0(VALU_DEP_4) | instskip(NEXT) | instid1(VALU_DEP_4)
	v_dual_fmamk_f32 v21, v83, 0x3f6eb680, v102 :: v_dual_add_f32 v84, v37, v8
	v_dual_mul_f32 v94, 0xbf06c442, v171 :: v_dual_add_f32 v85, v39, v41
	s_delay_alu instid0(VALU_DEP_4) | instskip(NEXT) | instid1(VALU_DEP_4)
	v_add_f32_e32 v10, v11, v10
	v_fma_f32 v11, 0xbe8c1d8e, v49, -v93
	v_sub_f32_e32 v177, v46, v44
	v_dual_sub_f32 v176, v42, v40 :: v_dual_sub_f32 v183, v57, v59
	v_dual_add_f32 v20, v21, v20 :: v_dual_fmamk_f32 v21, v84, 0xbf59a7d5, v94
	s_delay_alu instid0(VALU_DEP_3) | instskip(NEXT) | instid1(VALU_DEP_3)
	v_mul_f32_e32 v91, 0xbf4c4adb, v177
	v_mul_f32_e32 v90, 0x3f2c7751, v176
	v_add_f32_e32 v10, v11, v10
	v_add_f32_e32 v86, v43, v45
	v_dual_sub_f32 v174, v48, v52 :: v_dual_add_f32 v87, v47, v51
	v_mul_f32_e32 v109, 0x3f7ee86f, v183
	v_add_f32_e32 v11, v21, v20
	v_dual_fmamk_f32 v20, v85, 0x3f3d2fb0, v90 :: v_dual_add_f32 v81, v58, v60
	v_mul_f32_e32 v120, 0xbf763a35, v183
	v_dual_mul_f32 v110, 0xbf1a4643, v130 :: v_dual_mul_f32 v119, 0xbf1a4643, v135
	s_delay_alu instid0(VALU_DEP_3)
	v_dual_add_f32 v11, v20, v11 :: v_dual_fmamk_f32 v20, v86, 0xbf1a4643, v91
	v_mul_f32_e32 v100, 0x3f65296c, v174
	v_fma_f32 v23, 0x3dbcf732, v81, -v109
	v_mul_f32_e32 v118, 0xbf59a7d5, v135
	v_add_f32_e32 v89, v57, v59
	v_dual_add_f32 v11, v20, v11 :: v_dual_sub_f32 v180, v54, v56
	v_dual_fmamk_f32 v21, v87, 0x3ee437d1, v100 :: v_dual_mul_f32 v104, 0x3ee437d1, v132
	v_add_f32_e32 v88, v53, v55
	v_fma_f32 v25, 0xbe8c1d8e, v81, -v120
	s_delay_alu instid0(VALU_DEP_4) | instskip(NEXT) | instid1(VALU_DEP_4)
	v_mul_f32_e32 v101, 0xbf763a35, v180
	v_add_f32_e32 v21, v21, v11
	v_add_f32_e32 v11, v23, v10
	v_fmamk_f32 v20, v35, 0x3f06c442, v118
	v_dual_fmamk_f32 v22, v31, 0xbf65296c, v104 :: v_dual_sub_f32 v185, v58, v60
	v_fmamk_f32 v24, v88, 0xbe8c1d8e, v101
	v_mul_f32_e32 v126, 0xbf7ee86f, v171
	s_delay_alu instid0(VALU_DEP_4) | instskip(SKIP_3) | instid1(VALU_DEP_4)
	v_add_f32_e32 v20, v19, v20
	v_mul_f32_e32 v108, 0x3dbcf732, v129
	v_mul_f32_e32 v111, 0x3f6eb680, v133
	v_dual_add_f32 v10, v24, v21 :: v_dual_fmamk_f32 v21, v30, 0xbf4c4adb, v110
	v_add_f32_e32 v20, v22, v20
	s_delay_alu instid0(VALU_DEP_4) | instskip(SKIP_3) | instid1(VALU_DEP_4)
	v_dual_fmamk_f32 v22, v32, 0x3f7ee86f, v108 :: v_dual_mul_f32 v117, 0x3f7ee86f, v185
	v_mul_f32_e32 v123, 0xbf06c442, v157
	v_mul_f32_e32 v115, 0xbe3c28d5, v125
	;; [unrolled: 1-line block ×3, first 2 shown]
	v_add_f32_e32 v20, v22, v20
	v_mul_f32_e32 v112, 0x3f2c7751, v134
	v_fmamk_f32 v22, v50, 0xbf59a7d5, v123
	v_mul_f32_e32 v131, 0x3f4c4adb, v176
	s_delay_alu instid0(VALU_DEP_4) | instskip(NEXT) | instid1(VALU_DEP_3)
	v_dual_fmamk_f32 v23, v83, 0x3ee437d1, v124 :: v_dual_add_f32 v20, v21, v20
	v_dual_fmamk_f32 v21, v33, 0x3eb8f4ab, v111 :: v_dual_add_f32 v22, v18, v22
	v_dual_fmamk_f32 v24, v89, 0x3dbcf732, v117 :: v_dual_mul_f32 v107, 0x3dbcf732, v133
	s_delay_alu instid0(VALU_DEP_2) | instskip(SKIP_1) | instid1(VALU_DEP_4)
	v_dual_mul_f32 v105, 0x3f6eb680, v129 :: v_dual_add_f32 v20, v21, v20
	v_fma_f32 v21, 0xbf7ba420, v34, -v115
	v_dual_add_f32 v22, v23, v22 :: v_dual_fmamk_f32 v23, v84, 0x3dbcf732, v126
	v_mul_f32_e32 v141, 0x3f763a35, v167
	v_mul_f32_e32 v116, 0xbe8c1d8e, v132
	s_delay_alu instid0(VALU_DEP_4) | instskip(SKIP_4) | instid1(VALU_DEP_4)
	v_add_f32_e32 v20, v21, v20
	v_fma_f32 v21, 0x3f3d2fb0, v49, -v112
	v_add_f32_e32 v10, v24, v10
	v_mul_f32_e32 v149, 0xbe3c28d5, v174
	v_fmamk_f32 v24, v31, 0xbf763a35, v116
	v_dual_mul_f32 v127, 0xbeb8f4ab, v171 :: v_dual_add_f32 v20, v21, v20
	v_add_f32_e32 v21, v23, v22
	v_fmamk_f32 v23, v35, 0x3f4c4adb, v119
	v_mul_f32_e32 v196, 0x3f2c7751, v185
	v_mul_f32_e32 v138, 0x3f2c7751, v180
	v_dual_mul_f32 v106, 0xbf59a7d5, v130 :: v_dual_mul_f32 v159, 0xbf59a7d5, v132
	s_delay_alu instid0(VALU_DEP_4) | instskip(SKIP_3) | instid1(VALU_DEP_4)
	v_dual_add_f32 v23, v19, v23 :: v_dual_fmamk_f32 v22, v85, 0xbf1a4643, v131
	v_mul_f32_e32 v179, 0xbf4c4adb, v183
	v_fmamk_f32 v200, v89, 0x3f3d2fb0, v196
	v_mul_f32_e32 v193, 0xbf65296c, v157
	v_add_f32_e32 v23, v24, v23
	v_fmamk_f32 v24, v32, 0x3eb8f4ab, v105
	v_mul_f32_e32 v148, 0xbeb8f4ab, v177
	v_add_f32_e32 v21, v22, v21
	v_mul_f32_e32 v156, 0x3ee437d1, v133
	v_mul_f32_e32 v122, 0x3f65296c, v183
	s_delay_alu instid0(VALU_DEP_4) | instskip(SKIP_2) | instid1(VALU_DEP_4)
	v_dual_add_f32 v23, v24, v23 :: v_dual_fmamk_f32 v22, v86, 0x3f6eb680, v148
	v_dual_fmamk_f32 v24, v30, 0x3f06c442, v106 :: v_dual_mul_f32 v165, 0x3f06c442, v167
	v_mul_f32_e32 v140, 0xbf4c4adb, v157
	v_fma_f32 v27, 0x3ee437d1, v81, -v122
	s_delay_alu instid0(VALU_DEP_4)
	v_dual_add_f32 v21, v22, v21 :: v_dual_fmamk_f32 v22, v87, 0xbf7ba420, v149
	v_fmamk_f32 v26, v88, 0x3f3d2fb0, v138
	v_fma_f32 v153, 0xbf1a4643, v81, -v179
	v_mul_f32_e32 v158, 0xbe8c1d8e, v135
	v_mul_f32_e32 v113, 0xbf2c7751, v125
	v_dual_add_f32 v22, v22, v21 :: v_dual_add_f32 v21, v25, v20
	v_mul_f32_e32 v114, 0xbe3c28d5, v134
	v_mul_f32_e32 v143, 0xbf2c7751, v174
	;; [unrolled: 1-line block ×3, first 2 shown]
	s_delay_alu instid0(VALU_DEP_4)
	v_add_f32_e32 v20, v26, v22
	v_dual_add_f32 v22, v24, v23 :: v_dual_fmamk_f32 v23, v33, 0xbf7ee86f, v107
	v_fmamk_f32 v24, v50, 0xbf1a4643, v140
	v_mul_f32_e32 v144, 0xbe3c28d5, v180
	v_mul_f32_e32 v161, 0x3ee437d1, v130
	;; [unrolled: 1-line block ×3, first 2 shown]
	v_add_f32_e32 v22, v23, v22
	v_fma_f32 v23, 0x3f3d2fb0, v34, -v113
	v_dual_add_f32 v24, v18, v24 :: v_dual_fmamk_f32 v25, v83, 0xbe8c1d8e, v141
	v_mul_f32_e32 v142, 0x3f7ee86f, v177
	s_delay_alu instid0(VALU_DEP_3) | instskip(SKIP_1) | instid1(VALU_DEP_4)
	v_dual_fmamk_f32 v121, v88, 0xbf7ba420, v144 :: v_dual_add_f32 v22, v23, v22
	v_fma_f32 v23, 0xbf7ba420, v49, -v114
	v_dual_add_f32 v24, v25, v24 :: v_dual_fmamk_f32 v25, v84, 0x3f6eb680, v127
	v_mul_f32_e32 v150, 0xbf7ba420, v132
	v_mul_f32_e32 v186, 0xbe3c28d5, v167
	;; [unrolled: 1-line block ×3, first 2 shown]
	s_delay_alu instid0(VALU_DEP_4)
	v_dual_add_f32 v22, v23, v22 :: v_dual_add_f32 v23, v25, v24
	v_fmamk_f32 v24, v85, 0xbf59a7d5, v128
	v_fmamk_f32 v152, v31, 0x3e3c28d5, v150
	v_mul_f32_e32 v146, 0xbf763a35, v185
	v_fmamk_f32 v25, v35, 0x3f763a35, v158
	v_mul_f32_e32 v145, 0xbeb8f4ab, v134
	v_dual_add_f32 v23, v24, v23 :: v_dual_fmamk_f32 v24, v86, 0x3dbcf732, v142
	s_delay_alu instid0(VALU_DEP_4) | instskip(NEXT) | instid1(VALU_DEP_4)
	v_dual_fmamk_f32 v26, v89, 0xbe8c1d8e, v146 :: v_dual_mul_f32 v151, 0xbe8c1d8e, v129
	v_add_f32_e32 v25, v19, v25
	v_mul_f32_e32 v147, 0x3f2c7751, v171
	s_delay_alu instid0(VALU_DEP_4) | instskip(NEXT) | instid1(VALU_DEP_4)
	v_dual_add_f32 v23, v24, v23 :: v_dual_fmamk_f32 v24, v87, 0x3f3d2fb0, v143
	v_dual_add_f32 v20, v26, v20 :: v_dual_mul_f32 v163, 0xbf763a35, v157
	v_fmamk_f32 v26, v31, 0xbf06c442, v159
	v_mul_f32_e32 v160, 0x3f3d2fb0, v129
	s_delay_alu instid0(VALU_DEP_4) | instskip(NEXT) | instid1(VALU_DEP_3)
	v_dual_add_f32 v24, v24, v23 :: v_dual_add_f32 v23, v27, v22
	v_dual_mul_f32 v192, 0x3f4c4adb, v180 :: v_dual_add_f32 v25, v26, v25
	s_delay_alu instid0(VALU_DEP_3) | instskip(NEXT) | instid1(VALU_DEP_3)
	v_fmamk_f32 v26, v32, 0xbf2c7751, v160
	v_add_f32_e32 v22, v121, v24
	s_delay_alu instid0(VALU_DEP_3) | instskip(NEXT) | instid1(VALU_DEP_3)
	v_dual_mul_f32 v173, 0xbf1a4643, v132 :: v_dual_fmamk_f32 v190, v88, 0xbf1a4643, v192
	v_dual_mul_f32 v166, 0x3f4c4adb, v134 :: v_dual_add_f32 v25, v26, v25
	v_dual_mul_f32 v164, 0x3f7ee86f, v125 :: v_dual_mul_f32 v137, 0x3f7ee86f, v174
	s_delay_alu instid0(VALU_DEP_3) | instskip(SKIP_3) | instid1(VALU_DEP_3)
	v_fmamk_f32 v169, v31, 0x3f4c4adb, v173
	v_fmamk_f32 v26, v30, 0x3f65296c, v161
	v_mul_f32_e32 v121, 0xbf65296c, v176
	v_dual_mul_f32 v198, 0xbf06c442, v174 :: v_dual_add_f32 v13, v13, v19
	v_dual_mul_f32 v155, 0x3f6eb680, v130 :: v_dual_add_f32 v24, v26, v25
	v_fmamk_f32 v25, v33, 0x3e3c28d5, v162
	s_delay_alu instid0(VALU_DEP_3) | instskip(SKIP_1) | instid1(VALU_DEP_3)
	v_dual_mul_f32 v188, 0x3f763a35, v171 :: v_dual_add_f32 v15, v15, v13
	v_fmamk_f32 v26, v50, 0xbe8c1d8e, v163
	v_dual_fmamk_f32 v27, v83, 0xbf59a7d5, v165 :: v_dual_add_f32 v24, v25, v24
	v_fma_f32 v25, 0x3dbcf732, v34, -v164
	s_delay_alu instid0(VALU_DEP_3) | instskip(SKIP_1) | instid1(VALU_DEP_3)
	v_dual_mul_f32 v175, 0xbf4c4adb, v185 :: v_dual_add_f32 v26, v18, v26
	v_mul_f32_e32 v139, 0xbeb8f4ab, v180
	v_dual_mul_f32 v181, 0x3ee437d1, v135 :: v_dual_add_f32 v24, v25, v24
	v_fma_f32 v25, 0x3f6eb680, v49, -v145
	v_mul_f32_e32 v168, 0x3f65296c, v185
	v_mul_f32_e32 v210, 0xbf59a7d5, v133
	v_dual_add_f32 v26, v27, v26 :: v_dual_mul_f32 v191, 0x3eb8f4ab, v176
	s_delay_alu instid0(VALU_DEP_4) | instskip(NEXT) | instid1(VALU_DEP_4)
	v_add_f32_e32 v24, v25, v24
	v_fmamk_f32 v136, v89, 0x3ee437d1, v168
	v_fmamk_f32 v27, v84, 0x3f3d2fb0, v147
	v_dual_add_f32 v12, v12, v18 :: v_dual_fmamk_f32 v213, v33, 0xbf06c442, v210
	v_mul_f32_e32 v182, 0x3f2c7751, v183
	s_delay_alu instid0(VALU_DEP_4) | instskip(NEXT) | instid1(VALU_DEP_4)
	v_dual_add_f32 v22, v136, v22 :: v_dual_mul_f32 v197, 0xbf65296c, v177
	v_dual_add_f32 v25, v27, v26 :: v_dual_fmamk_f32 v26, v85, 0x3ee437d1, v121
	v_fmamk_f32 v27, v35, 0x3f7ee86f, v178
	s_delay_alu instid0(VALU_DEP_4) | instskip(SKIP_1) | instid1(VALU_DEP_4)
	v_fma_f32 v187, 0x3f3d2fb0, v81, -v182
	v_mul_f32_e32 v136, 0xbe3c28d5, v177
	v_dual_mul_f32 v194, 0xbf4c4adb, v167 :: v_dual_add_f32 v25, v26, v25
	s_delay_alu instid0(VALU_DEP_4) | instskip(SKIP_1) | instid1(VALU_DEP_3)
	v_dual_add_f32 v27, v19, v27 :: v_dual_fmamk_f32 v154, v88, 0x3f6eb680, v139
	v_mul_f32_e32 v184, 0xbf7ee86f, v157
	v_fmamk_f32 v199, v83, 0xbf1a4643, v194
	s_delay_alu instid0(VALU_DEP_3) | instskip(SKIP_3) | instid1(VALU_DEP_4)
	v_dual_fmamk_f32 v26, v86, 0xbf7ba420, v136 :: v_dual_add_f32 v27, v152, v27
	v_fmamk_f32 v152, v32, 0xbf763a35, v151
	v_mul_f32_e32 v172, 0xbf06c442, v125
	v_mul_f32_e32 v211, 0xbf7ba420, v130
	v_dual_add_f32 v25, v26, v25 :: v_dual_fmamk_f32 v26, v87, 0x3dbcf732, v137
	s_delay_alu instid0(VALU_DEP_4) | instskip(SKIP_2) | instid1(VALU_DEP_4)
	v_dual_add_f32 v27, v152, v27 :: v_dual_fmamk_f32 v152, v30, 0xbeb8f4ab, v155
	v_mul_f32_e32 v212, 0xbf7ee86f, v167
	v_dual_add_f32 v12, v14, v12 :: v_dual_mul_f32 v215, 0x3f763a35, v125
	v_dual_add_f32 v26, v26, v25 :: v_dual_add_f32 v25, v153, v24
	v_fmamk_f32 v153, v83, 0xbf7ba420, v186
	s_delay_alu instid0(VALU_DEP_4) | instskip(NEXT) | instid1(VALU_DEP_4)
	v_fmamk_f32 v216, v83, 0x3dbcf732, v212
	v_fma_f32 v217, 0xbe8c1d8e, v34, -v215
	s_delay_alu instid0(VALU_DEP_4) | instskip(SKIP_4) | instid1(VALU_DEP_4)
	v_add_f32_e32 v24, v154, v26
	v_dual_add_f32 v26, v152, v27 :: v_dual_fmamk_f32 v27, v33, 0x3f65296c, v156
	v_fmamk_f32 v152, v50, 0x3dbcf732, v184
	v_fmamk_f32 v154, v89, 0xbf1a4643, v175
	v_dual_fmamk_f32 v13, v30, 0x3e3c28d5, v211 :: v_dual_add_f32 v8, v8, v12
	v_add_f32_e32 v26, v27, v26
	v_fma_f32 v27, 0xbf59a7d5, v34, -v172
	v_add_f32_e32 v152, v18, v152
	v_add_f32_e32 v24, v154, v24
	v_fmamk_f32 v154, v86, 0x3ee437d1, v197
	v_add_f32_e32 v8, v41, v8
	v_add_f32_e32 v26, v27, v26
	v_fma_f32 v27, 0xbf1a4643, v49, -v166
	v_dual_add_f32 v152, v153, v152 :: v_dual_fmamk_f32 v153, v84, 0xbe8c1d8e, v188
	s_delay_alu instid0(VALU_DEP_4) | instskip(NEXT) | instid1(VALU_DEP_3)
	v_add_f32_e32 v45, v45, v8
	v_dual_add_f32 v9, v9, v15 :: v_dual_add_f32 v26, v27, v26
	s_delay_alu instid0(VALU_DEP_3)
	v_dual_fmac_f32 v92, 0xbe3c28d5, v35 :: v_dual_add_f32 v27, v153, v152
	v_fmamk_f32 v152, v85, 0x3f6eb680, v191
	v_fmamk_f32 v153, v35, 0x3f65296c, v181
	v_add_f32_e32 v45, v47, v45
	v_mul_f32_e32 v209, 0xbf2c7751, v157
	v_fmac_f32_e32 v118, 0xbf06c442, v35
	v_add_f32_e32 v27, v152, v27
	v_add_f32_e32 v153, v19, v153
	v_mul_f32_e32 v152, 0xbf7ba420, v129
	v_dual_add_f32 v53, v53, v45 :: v_dual_fmac_f32 v96, 0xbf06c442, v32
	s_delay_alu instid0(VALU_DEP_4) | instskip(NEXT) | instid1(VALU_DEP_3)
	v_dual_add_f32 v27, v154, v27 :: v_dual_fmamk_f32 v154, v87, 0xbf59a7d5, v198
	v_dual_add_f32 v169, v169, v153 :: v_dual_fmamk_f32 v170, v32, 0xbe3c28d5, v152
	v_mul_f32_e32 v153, 0xbe8c1d8e, v130
	s_delay_alu instid0(VALU_DEP_3) | instskip(SKIP_1) | instid1(VALU_DEP_4)
	v_dual_fmac_f32 v98, 0x3ee437d1, v34 :: v_dual_add_f32 v189, v154, v27
	v_add_f32_e32 v27, v187, v26
	v_add_f32_e32 v169, v170, v169
	s_delay_alu instid0(VALU_DEP_4) | instskip(SKIP_4) | instid1(VALU_DEP_4)
	v_fmamk_f32 v170, v30, 0xbf763a35, v153
	v_mul_f32_e32 v154, 0x3f3d2fb0, v133
	v_add_f32_e32 v26, v190, v189
	v_fmac_f32_e32 v104, 0x3f65296c, v31
	v_mul_f32_e32 v133, 0xbe8c1d8e, v133
	v_dual_add_f32 v170, v170, v169 :: v_dual_fmamk_f32 v187, v33, 0xbf2c7751, v154
	s_delay_alu instid0(VALU_DEP_4) | instskip(SKIP_2) | instid1(VALU_DEP_4)
	v_dual_add_f32 v26, v200, v26 :: v_dual_fmamk_f32 v189, v50, 0x3ee437d1, v193
	v_mul_f32_e32 v200, 0x3f3d2fb0, v135
	v_mul_f32_e32 v169, 0xbeb8f4ab, v125
	v_add_f32_e32 v187, v187, v170
	s_delay_alu instid0(VALU_DEP_4) | instskip(SKIP_3) | instid1(VALU_DEP_4)
	v_dual_mul_f32 v170, 0xbf7ee86f, v134 :: v_dual_add_f32 v195, v18, v189
	v_mul_f32_e32 v189, 0x3e3c28d5, v171
	v_fmamk_f32 v204, v35, 0x3f2c7751, v200
	v_fma_f32 v190, 0x3f6eb680, v34, -v169
	v_fma_f32 v201, 0x3dbcf732, v49, -v170
	v_add_f32_e32 v195, v199, v195
	s_delay_alu instid0(VALU_DEP_4) | instskip(NEXT) | instid1(VALU_DEP_4)
	v_dual_fmamk_f32 v199, v84, 0xbf7ba420, v189 :: v_dual_add_f32 v204, v19, v204
	v_dual_add_f32 v187, v190, v187 :: v_dual_mul_f32 v190, 0x3f763a35, v176
	s_delay_alu instid0(VALU_DEP_2) | instskip(SKIP_1) | instid1(VALU_DEP_3)
	v_dual_fmac_f32 v112, 0x3f3d2fb0, v49 :: v_dual_add_f32 v199, v199, v195
	v_mul_f32_e32 v195, 0x3f2c7751, v177
	v_add_f32_e32 v203, v201, v187
	s_delay_alu instid0(VALU_DEP_4) | instskip(SKIP_3) | instid1(VALU_DEP_4)
	v_fmamk_f32 v202, v85, 0xbe8c1d8e, v190
	v_mul_f32_e32 v201, 0x3dbcf732, v132
	v_mul_f32_e32 v187, 0xbf06c442, v183
	v_dual_fmamk_f32 v206, v86, 0x3f3d2fb0, v195 :: v_dual_add_f32 v53, v57, v53
	v_add_f32_e32 v205, v202, v199
	s_delay_alu instid0(VALU_DEP_4) | instskip(SKIP_3) | instid1(VALU_DEP_4)
	v_fmamk_f32 v207, v31, 0x3f7ee86f, v201
	v_mul_f32_e32 v202, 0xbf1a4643, v129
	v_mul_f32_e32 v199, 0xbeb8f4ab, v174
	v_fma_f32 v208, 0xbf59a7d5, v81, -v187
	v_dual_add_f32 v205, v206, v205 :: v_dual_add_f32 v204, v207, v204
	s_delay_alu instid0(VALU_DEP_4) | instskip(NEXT) | instid1(VALU_DEP_4)
	v_fmamk_f32 v206, v32, 0x3f4c4adb, v202
	v_fmamk_f32 v207, v87, 0x3f6eb680, v199
	v_add_f32_e32 v53, v59, v53
	v_mul_f32_e32 v135, 0x3f6eb680, v135
	v_fmac_f32_e32 v108, 0xbf7ee86f, v32
	v_fmac_f32_e32 v110, 0x3f4c4adb, v30
	v_add_f32_e32 v14, v207, v205
	v_dual_mul_f32 v207, 0xbf06c442, v185 :: v_dual_add_f32 v204, v206, v204
	v_mul_f32_e32 v206, 0xbf7ee86f, v180
	v_mul_f32_e32 v41, 0x3eb8f4ab, v183
	v_fmac_f32_e32 v106, 0xbf06c442, v30
	s_delay_alu instid0(VALU_DEP_4) | instskip(NEXT) | instid1(VALU_DEP_4)
	v_fmamk_f32 v214, v89, 0xbf59a7d5, v207
	v_dual_add_f32 v204, v13, v204 :: v_dual_fmamk_f32 v205, v88, 0x3dbcf732, v206
	v_add_f32_e32 v13, v208, v203
	v_fmamk_f32 v203, v50, 0x3f3d2fb0, v209
	v_mul_f32_e32 v208, 0x3f65296c, v134
	s_delay_alu instid0(VALU_DEP_4) | instskip(SKIP_1) | instid1(VALU_DEP_4)
	v_dual_mul_f32 v157, 0xbeb8f4ab, v157 :: v_dual_add_f32 v14, v205, v14
	v_add_f32_e32 v53, v55, v53
	v_add_f32_e32 v205, v18, v203
	v_mul_f32_e32 v203, 0xbf4c4adb, v171
	s_delay_alu instid0(VALU_DEP_4) | instskip(NEXT) | instid1(VALU_DEP_3)
	v_dual_fmac_f32 v145, 0x3f6eb680, v49 :: v_dual_add_f32 v12, v214, v14
	v_dual_fmac_f32 v116, 0x3f763a35, v31 :: v_dual_add_f32 v205, v216, v205
	s_delay_alu instid0(VALU_DEP_3)
	v_fmamk_f32 v216, v84, 0xbf1a4643, v203
	v_fmac_f32_e32 v114, 0xbf7ba420, v49
	v_fmac_f32_e32 v172, 0xbf59a7d5, v34
	;; [unrolled: 1-line block ×4, first 2 shown]
	v_add_f32_e32 v216, v216, v205
	v_mul_f32_e32 v205, 0x3f06c442, v177
	v_add_f32_e32 v213, v213, v204
	v_mul_f32_e32 v204, 0xbe3c28d5, v176
	v_fmac_f32_e32 v122, 0x3ee437d1, v81
	v_fmac_f32_e32 v156, 0xbf65296c, v33
	s_delay_alu instid0(VALU_DEP_4)
	v_dual_fmac_f32 v178, 0xbf7ee86f, v35 :: v_dual_add_f32 v15, v217, v213
	v_fma_f32 v213, 0x3ee437d1, v49, -v208
	v_fmamk_f32 v217, v85, 0xbf7ba420, v204
	v_fmac_f32_e32 v155, 0x3eb8f4ab, v30
	v_fma_f32 v59, 0xbf59a7d5, v87, -v198
	v_fmac_f32_e32 v201, 0xbf7ee86f, v31
	v_add_f32_e32 v14, v213, v15
	v_dual_add_f32 v15, v217, v216 :: v_dual_add_f32 v216, v42, v9
	v_fmac_f32_e32 v97, 0x3f2c7751, v30
	v_fmac_f32_e32 v103, 0xbf4c4adb, v33
	v_fmamk_f32 v213, v86, 0xbf59a7d5, v205
	s_delay_alu instid0(VALU_DEP_4) | instskip(SKIP_2) | instid1(VALU_DEP_4)
	v_dual_fmac_f32 v109, 0x3dbcf732, v81 :: v_dual_add_f32 v46, v46, v216
	v_mul_f32_e32 v42, 0x3f763a35, v174
	v_fmac_f32_e32 v187, 0xbf59a7d5, v81
	v_add_f32_e32 v9, v213, v15
	s_delay_alu instid0(VALU_DEP_4) | instskip(SKIP_3) | instid1(VALU_DEP_4)
	v_dual_mul_f32 v213, 0x3f3d2fb0, v132 :: v_dual_add_f32 v46, v48, v46
	v_fmamk_f32 v15, v35, 0x3eb8f4ab, v135
	v_fmamk_f32 v217, v87, 0xbe8c1d8e, v42
	v_mul_f32_e32 v132, 0x3f65296c, v180
	v_dual_fmac_f32 v111, 0xbeb8f4ab, v33 :: v_dual_add_f32 v54, v54, v46
	s_delay_alu instid0(VALU_DEP_4) | instskip(NEXT) | instid1(VALU_DEP_4)
	v_add_f32_e32 v15, v19, v15
	v_dual_add_f32 v9, v217, v9 :: v_dual_mul_f32 v46, 0xbf06c442, v134
	v_fmac_f32_e32 v115, 0xbf7ba420, v34
	s_delay_alu instid0(VALU_DEP_4)
	v_add_f32_e32 v54, v58, v54
	v_fma_f32 v217, 0x3f6eb680, v81, -v41
	v_fmac_f32_e32 v215, 0xbe8c1d8e, v34
	v_add_f32_e32 v51, v51, v53
	v_fma_f32 v53, 0xbf59a7d5, v83, -v165
	v_dual_add_f32 v54, v60, v54 :: v_dual_mul_f32 v47, 0xbf4c4adb, v125
	v_mul_f32_e32 v57, 0xbf763a35, v177
	s_delay_alu instid0(VALU_DEP_4) | instskip(NEXT) | instid1(VALU_DEP_3)
	v_add_f32_e32 v43, v43, v51
	v_dual_fmac_f32 v93, 0xbe8c1d8e, v49 :: v_dual_add_f32 v54, v56, v54
	s_delay_alu instid0(VALU_DEP_4) | instskip(SKIP_1) | instid1(VALU_DEP_4)
	v_fma_f32 v45, 0xbf1a4643, v34, -v47
	v_fmac_f32_e32 v105, 0xbeb8f4ab, v32
	v_dual_add_f32 v39, v39, v43 :: v_dual_fmamk_f32 v56, v86, 0xbe8c1d8e, v57
	s_delay_alu instid0(VALU_DEP_4) | instskip(SKIP_1) | instid1(VALU_DEP_3)
	v_add_f32_e32 v52, v52, v54
	v_dual_add_f32 v54, v19, v92 :: v_dual_fmac_f32 v119, 0xbf4c4adb, v35
	v_add_f32_e32 v37, v37, v39
	v_fma_f32 v39, 0xbf7ba420, v50, -v99
	s_delay_alu instid0(VALU_DEP_4) | instskip(NEXT) | instid1(VALU_DEP_4)
	v_add_f32_e32 v44, v44, v52
	v_add_f32_e32 v52, v95, v54
	v_fma_f32 v54, 0xbf7ba420, v83, -v186
	s_delay_alu instid0(VALU_DEP_4) | instskip(NEXT) | instid1(VALU_DEP_4)
	v_dual_add_f32 v0, v0, v37 :: v_dual_add_f32 v37, v18, v39
	v_add_f32_e32 v40, v40, v44
	s_delay_alu instid0(VALU_DEP_4) | instskip(SKIP_1) | instid1(VALU_DEP_3)
	v_dual_add_f32 v44, v96, v52 :: v_dual_add_f32 v39, v19, v118
	v_fmac_f32_e32 v162, 0xbe3c28d5, v33
	v_dual_fmac_f32 v159, 0x3f06c442, v31 :: v_dual_add_f32 v38, v38, v40
	s_delay_alu instid0(VALU_DEP_3) | instskip(NEXT) | instid1(VALU_DEP_4)
	v_add_f32_e32 v40, v97, v44
	v_dual_fmamk_f32 v218, v31, 0x3f2c7751, v213 :: v_dual_add_f32 v39, v104, v39
	v_fmac_f32_e32 v213, 0xbf2c7751, v31
	s_delay_alu instid0(VALU_DEP_3) | instskip(SKIP_3) | instid1(VALU_DEP_4)
	v_dual_add_f32 v1, v1, v38 :: v_dual_add_f32 v38, v103, v40
	v_mul_f32_e32 v48, 0xbf2c7751, v167
	v_mul_f32_e32 v134, 0xbf65296c, v171
	v_add_f32_e32 v15, v218, v15
	v_add_f32_e32 v1, v3, v1
	v_dual_add_f32 v3, v98, v38 :: v_dual_mul_f32 v214, 0x3ee437d1, v129
	v_fmamk_f32 v129, v88, 0x3ee437d1, v132
	v_mul_f32_e32 v171, 0xbf7ee86f, v176
	v_mul_f32_e32 v130, 0x3dbcf732, v130
	v_fmamk_f32 v125, v83, 0x3f3d2fb0, v48
	s_delay_alu instid0(VALU_DEP_4) | instskip(SKIP_3) | instid1(VALU_DEP_4)
	v_dual_fmamk_f32 v218, v32, 0x3f65296c, v214 :: v_dual_add_f32 v219, v129, v9
	v_mul_f32_e32 v129, 0x3eb8f4ab, v185
	v_add_f32_e32 v9, v217, v14
	v_fma_f32 v167, 0xbf59a7d5, v49, -v46
	v_add_f32_e32 v14, v218, v15
	v_add_f32_e32 v39, v108, v39
	v_fmamk_f32 v217, v89, 0x3f6eb680, v129
	v_fmamk_f32 v15, v30, 0x3f7ee86f, v130
	v_fma_f32 v38, 0x3f6eb680, v83, -v102
	v_fma_f32 v40, 0x3ee437d1, v83, -v124
	v_add_f32_e32 v39, v110, v39
	v_add_f32_e32 v8, v217, v219
	v_dual_add_f32 v14, v15, v14 :: v_dual_fmamk_f32 v15, v33, 0x3f763a35, v133
	v_add_f32_e32 v37, v38, v37
	s_delay_alu instid0(VALU_DEP_4) | instskip(SKIP_1) | instid1(VALU_DEP_4)
	v_dual_add_f32 v39, v111, v39 :: v_dual_add_f32 v0, v2, v0
	v_add_f32_e32 v2, v93, v3
	v_dual_add_f32 v14, v15, v14 :: v_dual_fmamk_f32 v15, v50, 0x3f6eb680, v157
	v_fma_f32 v38, 0xbf59a7d5, v84, -v94
	s_delay_alu instid0(VALU_DEP_4) | instskip(NEXT) | instid1(VALU_DEP_4)
	v_add_f32_e32 v39, v115, v39
	v_add_f32_e32 v3, v109, v2
	s_delay_alu instid0(VALU_DEP_4) | instskip(SKIP_2) | instid1(VALU_DEP_3)
	v_dual_add_f32 v14, v45, v14 :: v_dual_add_f32 v15, v18, v15
	v_mul_f32_e32 v45, 0xbe3c28d5, v183
	v_fma_f32 v2, 0xbf59a7d5, v50, -v123
	v_dual_add_f32 v37, v38, v37 :: v_dual_add_f32 v14, v167, v14
	s_delay_alu instid0(VALU_DEP_4) | instskip(SKIP_4) | instid1(VALU_DEP_4)
	v_add_f32_e32 v15, v125, v15
	v_fmamk_f32 v125, v84, 0x3ee437d1, v134
	v_fma_f32 v58, 0xbf7ba420, v81, -v45
	v_fmamk_f32 v167, v85, 0x3dbcf732, v171
	v_fma_f32 v38, 0x3f3d2fb0, v85, -v90
	v_dual_add_f32 v2, v18, v2 :: v_dual_add_f32 v125, v125, v15
	s_delay_alu instid0(VALU_DEP_4) | instskip(NEXT) | instid1(VALU_DEP_3)
	v_add_f32_e32 v15, v58, v14
	v_dual_mul_f32 v58, 0xbf4c4adb, v174 :: v_dual_add_f32 v37, v38, v37
	v_fma_f32 v38, 0xbf1a4643, v86, -v91
	s_delay_alu instid0(VALU_DEP_4) | instskip(NEXT) | instid1(VALU_DEP_3)
	v_add_f32_e32 v14, v167, v125
	v_dual_add_f32 v2, v40, v2 :: v_dual_fmamk_f32 v55, v87, 0xbf1a4643, v58
	v_fma_f32 v40, 0x3dbcf732, v84, -v126
	s_delay_alu instid0(VALU_DEP_3) | instskip(SKIP_2) | instid1(VALU_DEP_4)
	v_dual_add_f32 v37, v38, v37 :: v_dual_add_f32 v14, v56, v14
	v_mul_f32_e32 v56, 0xbe3c28d5, v185
	v_fma_f32 v38, 0x3ee437d1, v87, -v100
	v_add_f32_e32 v2, v40, v2
	v_fma_f32 v40, 0xbf1a4643, v85, -v131
	v_dual_add_f32 v14, v55, v14 :: v_dual_mul_f32 v55, 0xbf06c442, v180
	v_fmamk_f32 v43, v89, 0xbf7ba420, v56
	v_add_f32_e32 v37, v38, v37
	v_fma_f32 v38, 0xbe8c1d8e, v88, -v101
	v_add_f32_e32 v2, v40, v2
	v_fmamk_f32 v51, v88, 0xbf59a7d5, v55
	v_fma_f32 v40, 0x3f6eb680, v86, -v148
	v_fmac_f32_e32 v107, 0x3f7ee86f, v33
	v_add_f32_e32 v37, v38, v37
	v_fma_f32 v38, 0x3dbcf732, v89, -v117
	v_add_f32_e32 v14, v51, v14
	v_add_f32_e32 v40, v40, v2
	v_fma_f32 v51, 0xbe8c1d8e, v83, -v141
	v_fma_f32 v90, 0xbf1a4643, v83, -v194
	v_add_f32_e32 v2, v38, v37
	v_add_f32_e32 v14, v43, v14
	v_fma_f32 v43, 0xbf7ba420, v87, -v149
	v_add_f32_e32 v37, v112, v39
	v_fma_f32 v92, 0x3dbcf732, v83, -v212
	v_fmac_f32_e32 v113, 0x3f3d2fb0, v34
	v_fmac_f32_e32 v45, 0xbf7ba420, v81
	v_add_f32_e32 v39, v43, v40
	v_fma_f32 v40, 0x3f3d2fb0, v88, -v138
	v_add_f32_e32 v43, v19, v119
	v_fmac_f32_e32 v161, 0xbf65296c, v30
	v_fmac_f32_e32 v151, 0x3f763a35, v32
	;; [unrolled: 1-line block ×3, first 2 shown]
	v_add_f32_e32 v39, v40, v39
	v_fma_f32 v40, 0xbe8c1d8e, v89, -v146
	v_dual_fmac_f32 v120, 0xbe8c1d8e, v81 :: v_dual_add_f32 v43, v116, v43
	v_fmac_f32_e32 v166, 0xbf1a4643, v49
	v_fmac_f32_e32 v182, 0x3f3d2fb0, v81
	s_delay_alu instid0(VALU_DEP_3)
	v_dual_fmac_f32 v153, 0x3f763a35, v30 :: v_dual_add_f32 v38, v120, v37
	v_fma_f32 v37, 0xbf1a4643, v50, -v140
	v_fmac_f32_e32 v200, 0xbf2c7751, v35
	v_fmac_f32_e32 v173, 0xbf4c4adb, v31
	v_fma_f32 v31, 0x3f3d2fb0, v83, -v48
	v_fmac_f32_e32 v152, 0x3e3c28d5, v32
	v_dual_add_f32 v44, v18, v37 :: v_dual_add_f32 v37, v40, v39
	v_add_f32_e32 v39, v105, v43
	v_fma_f32 v43, 0x3f6eb680, v84, -v127
	v_fmac_f32_e32 v154, 0x3f2c7751, v33
	s_delay_alu instid0(VALU_DEP_4) | instskip(SKIP_4) | instid1(VALU_DEP_3)
	v_add_f32_e32 v40, v51, v44
	v_fma_f32 v51, 0xbf7ba420, v88, -v144
	v_dual_add_f32 v39, v106, v39 :: v_dual_fmac_f32 v202, 0xbf4c4adb, v32
	v_fmac_f32_e32 v130, 0xbf7ee86f, v30
	v_fmac_f32_e32 v214, 0xbf65296c, v32
	v_dual_fmac_f32 v46, 0xbf59a7d5, v49 :: v_dual_add_f32 v39, v107, v39
	v_fmac_f32_e32 v47, 0xbf1a4643, v34
	s_delay_alu instid0(VALU_DEP_2) | instskip(SKIP_1) | instid1(VALU_DEP_1)
	v_dual_add_f32 v39, v113, v39 :: v_dual_add_f32 v40, v43, v40
	v_fma_f32 v43, 0xbf59a7d5, v85, -v128
	v_dual_add_f32 v39, v114, v39 :: v_dual_add_f32 v40, v43, v40
	v_fma_f32 v43, 0x3dbcf732, v86, -v142
	s_delay_alu instid0(VALU_DEP_1) | instskip(SKIP_1) | instid1(VALU_DEP_1)
	v_add_f32_e32 v40, v43, v40
	v_fma_f32 v43, 0x3f3d2fb0, v87, -v143
	v_dual_add_f32 v43, v43, v40 :: v_dual_add_f32 v40, v122, v39
	v_fma_f32 v39, 0xbe8c1d8e, v50, -v163
	s_delay_alu instid0(VALU_DEP_2) | instskip(SKIP_1) | instid1(VALU_DEP_3)
	v_dual_fmac_f32 v160, 0x3f2c7751, v32 :: v_dual_add_f32 v43, v51, v43
	v_fma_f32 v51, 0x3ee437d1, v89, -v168
	v_add_f32_e32 v52, v18, v39
	v_fmac_f32_e32 v158, 0xbf763a35, v35
	s_delay_alu instid0(VALU_DEP_3) | instskip(NEXT) | instid1(VALU_DEP_2)
	v_add_f32_e32 v39, v51, v43
	v_dual_add_f32 v51, v53, v52 :: v_dual_add_f32 v44, v19, v158
	v_fma_f32 v52, 0x3f3d2fb0, v84, -v147
	v_add_f32_e32 v53, v19, v178
	s_delay_alu instid0(VALU_DEP_2) | instskip(SKIP_1) | instid1(VALU_DEP_2)
	v_dual_add_f32 v44, v159, v44 :: v_dual_add_f32 v51, v52, v51
	v_fma_f32 v52, 0x3ee437d1, v85, -v121
	v_dual_add_f32 v53, v150, v53 :: v_dual_add_f32 v44, v160, v44
	s_delay_alu instid0(VALU_DEP_2) | instskip(SKIP_1) | instid1(VALU_DEP_3)
	v_add_f32_e32 v51, v52, v51
	v_fma_f32 v52, 0xbf7ba420, v86, -v136
	v_dual_add_f32 v53, v151, v53 :: v_dual_add_f32 v44, v161, v44
	s_delay_alu instid0(VALU_DEP_2) | instskip(NEXT) | instid1(VALU_DEP_2)
	v_dual_fmac_f32 v164, 0x3dbcf732, v34 :: v_dual_add_f32 v51, v52, v51
	v_dual_add_f32 v53, v155, v53 :: v_dual_add_f32 v44, v162, v44
	v_fma_f32 v52, 0x3dbcf732, v87, -v137
	s_delay_alu instid0(VALU_DEP_2) | instskip(NEXT) | instid1(VALU_DEP_2)
	v_add_f32_e32 v44, v164, v44
	v_add_f32_e32 v51, v52, v51
	v_fma_f32 v52, 0x3f6eb680, v88, -v139
	v_add_f32_e32 v53, v156, v53
	s_delay_alu instid0(VALU_DEP_4) | instskip(NEXT) | instid1(VALU_DEP_3)
	v_add_f32_e32 v43, v145, v44
	v_add_f32_e32 v51, v52, v51
	s_delay_alu instid0(VALU_DEP_3) | instskip(SKIP_1) | instid1(VALU_DEP_4)
	v_add_f32_e32 v53, v172, v53
	v_fma_f32 v52, 0xbf1a4643, v89, -v175
	v_add_f32_e32 v44, v179, v43
	v_fma_f32 v43, 0x3dbcf732, v50, -v184
	s_delay_alu instid0(VALU_DEP_1) | instskip(NEXT) | instid1(VALU_DEP_1)
	v_add_f32_e32 v43, v18, v43
	v_add_f32_e32 v43, v54, v43
	v_fma_f32 v54, 0xbe8c1d8e, v84, -v188
	s_delay_alu instid0(VALU_DEP_1) | instskip(SKIP_1) | instid1(VALU_DEP_1)
	v_add_f32_e32 v43, v54, v43
	v_fma_f32 v54, 0x3f6eb680, v85, -v191
	v_add_f32_e32 v43, v54, v43
	v_fma_f32 v54, 0x3ee437d1, v86, -v197
	s_delay_alu instid0(VALU_DEP_1) | instskip(SKIP_2) | instid1(VALU_DEP_3)
	v_add_f32_e32 v54, v54, v43
	v_add_f32_e32 v43, v52, v51
	;; [unrolled: 1-line block ×4, first 2 shown]
	v_fma_f32 v54, 0xbf1a4643, v88, -v192
	s_delay_alu instid0(VALU_DEP_3) | instskip(SKIP_1) | instid1(VALU_DEP_3)
	v_add_f32_e32 v52, v182, v51
	v_fma_f32 v51, 0x3ee437d1, v50, -v193
	v_add_f32_e32 v53, v54, v53
	v_fma_f32 v54, 0x3f3d2fb0, v89, -v196
	s_delay_alu instid0(VALU_DEP_3) | instskip(SKIP_1) | instid1(VALU_DEP_3)
	v_add_f32_e32 v60, v18, v51
	v_fmac_f32_e32 v181, 0xbf65296c, v35
	v_add_f32_e32 v51, v54, v53
	s_delay_alu instid0(VALU_DEP_2) | instskip(SKIP_2) | instid1(VALU_DEP_3)
	v_dual_add_f32 v54, v90, v60 :: v_dual_add_f32 v59, v19, v181
	v_add_f32_e32 v60, v19, v200
	v_fma_f32 v90, 0x3dbcf732, v88, -v206
	v_add_f32_e32 v59, v173, v59
	s_delay_alu instid0(VALU_DEP_1) | instskip(SKIP_1) | instid1(VALU_DEP_1)
	v_add_f32_e32 v53, v152, v59
	v_fma_f32 v59, 0xbf7ba420, v84, -v189
	v_add_f32_e32 v54, v59, v54
	v_fma_f32 v59, 0xbe8c1d8e, v85, -v190
	s_delay_alu instid0(VALU_DEP_1) | instskip(SKIP_3) | instid1(VALU_DEP_3)
	v_add_f32_e32 v54, v59, v54
	v_add_f32_e32 v60, v201, v60
	;; [unrolled: 1-line block ×3, first 2 shown]
	v_fma_f32 v59, 0x3f3d2fb0, v86, -v195
	v_dual_fmac_f32 v169, 0x3f6eb680, v34 :: v_dual_add_f32 v60, v202, v60
	s_delay_alu instid0(VALU_DEP_2) | instskip(SKIP_1) | instid1(VALU_DEP_1)
	v_dual_add_f32 v53, v154, v53 :: v_dual_add_f32 v54, v59, v54
	v_fma_f32 v59, 0x3f6eb680, v87, -v199
	v_dual_fmac_f32 v170, 0x3dbcf732, v49 :: v_dual_add_f32 v59, v59, v54
	s_delay_alu instid0(VALU_DEP_1)
	v_dual_fmac_f32 v210, 0x3f06c442, v33 :: v_dual_add_f32 v59, v90, v59
	v_fmac_f32_e32 v211, 0xbe3c28d5, v30
	v_add_f32_e32 v53, v169, v53
	v_fma_f32 v90, 0xbf59a7d5, v89, -v207
	v_fmac_f32_e32 v208, 0x3ee437d1, v49
	v_fma_f32 v30, 0x3dbcf732, v85, -v171
	v_add_f32_e32 v60, v211, v60
	s_delay_alu instid0(VALU_DEP_1) | instskip(NEXT) | instid1(VALU_DEP_1)
	v_add_f32_e32 v60, v210, v60
	v_dual_add_f32 v53, v170, v53 :: v_dual_add_f32 v60, v215, v60
	s_delay_alu instid0(VALU_DEP_1) | instskip(SKIP_2) | instid1(VALU_DEP_2)
	v_add_f32_e32 v54, v187, v53
	v_fma_f32 v53, 0x3f3d2fb0, v50, -v209
	v_fma_f32 v50, 0x3f6eb680, v50, -v157
	v_add_f32_e32 v91, v18, v53
	s_delay_alu instid0(VALU_DEP_2)
	v_add_f32_e32 v18, v18, v50
	v_add_f32_e32 v53, v90, v59
	v_fmac_f32_e32 v135, 0xbeb8f4ab, v35
	v_add_f32_e32 v35, v208, v60
	v_add_f32_e32 v59, v92, v91
	v_fma_f32 v60, 0xbf1a4643, v84, -v203
	v_add_f32_e32 v18, v31, v18
	v_fma_f32 v31, 0x3ee437d1, v84, -v134
	v_fma_f32 v50, 0xbf7ba420, v85, -v204
	s_delay_alu instid0(VALU_DEP_4) | instskip(SKIP_1) | instid1(VALU_DEP_4)
	v_add_f32_e32 v48, v60, v59
	v_add_f32_e32 v19, v19, v135
	;; [unrolled: 1-line block ×3, first 2 shown]
	s_delay_alu instid0(VALU_DEP_2) | instskip(NEXT) | instid1(VALU_DEP_2)
	v_dual_add_f32 v32, v50, v48 :: v_dual_add_f32 v19, v213, v19
	v_add_f32_e32 v18, v30, v18
	v_fma_f32 v48, 0xbf59a7d5, v86, -v205
	v_fma_f32 v30, 0xbe8c1d8e, v86, -v57
	s_delay_alu instid0(VALU_DEP_4) | instskip(NEXT) | instid1(VALU_DEP_2)
	v_add_f32_e32 v19, v214, v19
	v_dual_add_f32 v31, v48, v32 :: v_dual_add_f32 v18, v30, v18
	v_fma_f32 v30, 0xbf1a4643, v87, -v58
	v_fma_f32 v32, 0xbe8c1d8e, v87, -v42
	s_delay_alu instid0(VALU_DEP_4)
	v_add_f32_e32 v19, v130, v19
	v_fmac_f32_e32 v133, 0xbf763a35, v33
	v_fma_f32 v42, 0xbf7ba420, v89, -v56
	v_add_f32_e32 v18, v30, v18
	v_fma_f32 v30, 0xbf59a7d5, v88, -v55
	v_add_f32_e32 v31, v32, v31
	v_fma_f32 v32, 0x3ee437d1, v88, -v132
	v_and_b32_e32 v33, 0xffff, v82
	s_delay_alu instid0(VALU_DEP_4) | instskip(NEXT) | instid1(VALU_DEP_3)
	v_dual_add_f32 v30, v30, v18 :: v_dual_add_f32 v19, v133, v19
	v_add_f32_e32 v31, v32, v31
	v_fma_f32 v32, 0x3f6eb680, v89, -v129
	s_delay_alu instid0(VALU_DEP_3) | instskip(NEXT) | instid1(VALU_DEP_4)
	v_dual_fmac_f32 v41, 0x3f6eb680, v81 :: v_dual_add_f32 v30, v42, v30
	v_add_f32_e32 v19, v47, v19
	v_lshl_add_u32 v33, v33, 3, v80
	s_delay_alu instid0(VALU_DEP_4) | instskip(NEXT) | instid1(VALU_DEP_3)
	v_add_f32_e32 v18, v32, v31
	v_add_f32_e32 v34, v46, v19
	;; [unrolled: 1-line block ×3, first 2 shown]
	s_delay_alu instid0(VALU_DEP_2)
	v_add_f32_e32 v31, v45, v34
	ds_store_2addr_b64 v33, v[0:1], v[14:15] offset1:1
	ds_store_2addr_b64 v33, v[8:9], v[12:13] offset0:2 offset1:3
	ds_store_2addr_b64 v33, v[26:27], v[24:25] offset0:4 offset1:5
	;; [unrolled: 1-line block ×7, first 2 shown]
	ds_store_b64 v33, v[30:31] offset:128
.LBB0_13:
	s_wait_alu 0xfffe
	s_or_b32 exec_lo, exec_lo, s4
	global_wb scope:SCOPE_SE
	s_wait_dscnt 0x0
	s_barrier_signal -1
	s_barrier_wait -1
	global_inv scope:SCOPE_SE
	ds_load_2addr_b64 v[0:3], v29 offset1:17
	ds_load_2addr_b64 v[8:11], v29 offset0:34 offset1:51
	s_wait_dscnt 0x0
	v_dual_mul_f32 v12, v5, v3 :: v_dual_mul_f32 v13, v7, v9
	v_mul_f32_e32 v5, v5, v2
	v_dual_mul_f32 v7, v7, v8 :: v_dual_mul_f32 v14, v17, v11
	s_delay_alu instid0(VALU_DEP_3) | instskip(NEXT) | instid1(VALU_DEP_3)
	v_dual_fmac_f32 v12, v4, v2 :: v_dual_fmac_f32 v13, v6, v8
	v_fma_f32 v2, v4, v3, -v5
	s_delay_alu instid0(VALU_DEP_3) | instskip(NEXT) | instid1(VALU_DEP_1)
	v_fma_f32 v3, v6, v9, -v7
	v_dual_sub_f32 v5, v0, v13 :: v_dual_sub_f32 v6, v1, v3
	v_fmac_f32_e32 v14, v16, v10
	s_delay_alu instid0(VALU_DEP_2) | instskip(NEXT) | instid1(VALU_DEP_3)
	v_fma_f32 v7, v0, 2.0, -v5
	v_fma_f32 v8, v1, 2.0, -v6
	s_delay_alu instid0(VALU_DEP_3) | instskip(NEXT) | instid1(VALU_DEP_1)
	v_sub_f32_e32 v3, v12, v14
	v_fma_f32 v9, v12, 2.0, -v3
	v_mul_f32_e32 v15, v17, v10
	s_delay_alu instid0(VALU_DEP_1) | instskip(NEXT) | instid1(VALU_DEP_1)
	v_fma_f32 v4, v16, v11, -v15
	v_sub_f32_e32 v4, v2, v4
	s_delay_alu instid0(VALU_DEP_1) | instskip(SKIP_2) | instid1(VALU_DEP_3)
	v_fma_f32 v10, v2, 2.0, -v4
	v_sub_f32_e32 v2, v7, v9
	v_dual_add_f32 v0, v5, v4 :: v_dual_sub_f32 v1, v6, v3
	v_sub_f32_e32 v3, v8, v10
	s_delay_alu instid0(VALU_DEP_2) | instskip(NEXT) | instid1(VALU_DEP_3)
	v_fma_f32 v4, v5, 2.0, -v0
	v_fma_f32 v5, v6, 2.0, -v1
	;; [unrolled: 1-line block ×3, first 2 shown]
	s_delay_alu instid0(VALU_DEP_4)
	v_fma_f32 v7, v8, 2.0, -v3
	ds_store_2addr_b64 v28, v[2:3], v[0:1] offset0:34 offset1:51
	ds_store_2addr_b64 v28, v[6:7], v[4:5] offset1:17
	global_wb scope:SCOPE_SE
	s_wait_dscnt 0x0
	s_barrier_signal -1
	s_barrier_wait -1
	global_inv scope:SCOPE_SE
	s_and_b32 exec_lo, exec_lo, vcc_lo
	s_cbranch_execz .LBB0_15
; %bb.14:
	global_load_b64 v[0:1], v61, s[8:9]
	ds_load_b64 v[2:3], v79
	v_mad_co_u64_u32 v[6:7], null, s0, v78, 0
	s_mov_b32 s4, 0x1e1e1e1e
	s_mov_b32 s5, 0x3f8e1e1e
	s_wait_loadcnt_dscnt 0x0
	v_mul_f32_e32 v4, v3, v1
	v_mul_f32_e32 v1, v2, v1
	s_delay_alu instid0(VALU_DEP_2) | instskip(NEXT) | instid1(VALU_DEP_2)
	v_fmac_f32_e32 v4, v2, v0
	v_fma_f32 v2, v0, v3, -v1
	s_delay_alu instid0(VALU_DEP_2) | instskip(NEXT) | instid1(VALU_DEP_2)
	v_cvt_f64_f32_e32 v[0:1], v4
	v_cvt_f64_f32_e32 v[2:3], v2
	v_mad_co_u64_u32 v[4:5], null, s2, v36, 0
	s_wait_alu 0xfffe
	s_delay_alu instid0(VALU_DEP_3) | instskip(NEXT) | instid1(VALU_DEP_3)
	v_mul_f64_e32 v[0:1], s[4:5], v[0:1]
	v_mul_f64_e32 v[2:3], s[4:5], v[2:3]
	s_delay_alu instid0(VALU_DEP_2) | instskip(NEXT) | instid1(VALU_DEP_4)
	v_cvt_f32_f64_e32 v8, v[0:1]
	v_dual_mov_b32 v1, v7 :: v_dual_mov_b32 v0, v5
	s_delay_alu instid0(VALU_DEP_3) | instskip(NEXT) | instid1(VALU_DEP_2)
	v_cvt_f32_f64_e32 v9, v[2:3]
	v_mad_co_u64_u32 v[2:3], null, s3, v36, v[0:1]
	s_delay_alu instid0(VALU_DEP_1) | instskip(SKIP_1) | instid1(VALU_DEP_2)
	v_mad_co_u64_u32 v[0:1], null, s1, v78, v[1:2]
	v_mov_b32_e32 v5, v2
	v_mov_b32_e32 v7, v0
	s_delay_alu instid0(VALU_DEP_2) | instskip(NEXT) | instid1(VALU_DEP_2)
	v_lshlrev_b64_e32 v[0:1], 3, v[4:5]
	v_lshlrev_b64_e32 v[2:3], 3, v[6:7]
	s_delay_alu instid0(VALU_DEP_2) | instskip(NEXT) | instid1(VALU_DEP_3)
	v_add_co_u32 v0, vcc_lo, s12, v0
	v_add_co_ci_u32_e32 v1, vcc_lo, s13, v1, vcc_lo
	s_delay_alu instid0(VALU_DEP_2) | instskip(SKIP_1) | instid1(VALU_DEP_2)
	v_add_co_u32 v2, vcc_lo, v0, v2
	s_wait_alu 0xfffd
	v_add_co_ci_u32_e32 v3, vcc_lo, v1, v3, vcc_lo
	global_store_b64 v[2:3], v[8:9], off
	global_load_b64 v[6:7], v61, s[8:9] offset:32
	ds_load_2addr_b64 v[2:5], v28 offset0:4 offset1:8
	s_wait_loadcnt_dscnt 0x0
	v_mul_f32_e32 v8, v3, v7
	v_mul_f32_e32 v7, v2, v7
	s_delay_alu instid0(VALU_DEP_2) | instskip(NEXT) | instid1(VALU_DEP_2)
	v_fmac_f32_e32 v8, v2, v6
	v_fma_f32 v6, v6, v3, -v7
	s_delay_alu instid0(VALU_DEP_2) | instskip(NEXT) | instid1(VALU_DEP_2)
	v_cvt_f64_f32_e32 v[2:3], v8
	v_cvt_f64_f32_e32 v[6:7], v6
	v_mad_co_u64_u32 v[8:9], null, s0, v77, 0
	s_delay_alu instid0(VALU_DEP_3) | instskip(NEXT) | instid1(VALU_DEP_3)
	v_mul_f64_e32 v[2:3], s[4:5], v[2:3]
	v_mul_f64_e32 v[6:7], s[4:5], v[6:7]
	s_delay_alu instid0(VALU_DEP_2) | instskip(NEXT) | instid1(VALU_DEP_2)
	v_cvt_f32_f64_e32 v2, v[2:3]
	v_cvt_f32_f64_e32 v3, v[6:7]
	v_mov_b32_e32 v6, v9
	s_delay_alu instid0(VALU_DEP_1) | instskip(NEXT) | instid1(VALU_DEP_1)
	v_mad_co_u64_u32 v[6:7], null, s1, v77, v[6:7]
	v_mov_b32_e32 v9, v6
	s_delay_alu instid0(VALU_DEP_1) | instskip(NEXT) | instid1(VALU_DEP_1)
	v_lshlrev_b64_e32 v[6:7], 3, v[8:9]
	v_add_co_u32 v6, vcc_lo, v0, v6
	s_wait_alu 0xfffd
	s_delay_alu instid0(VALU_DEP_2)
	v_add_co_ci_u32_e32 v7, vcc_lo, v1, v7, vcc_lo
	global_store_b64 v[6:7], v[2:3], off
	global_load_b64 v[2:3], v61, s[8:9] offset:64
	s_wait_loadcnt 0x0
	v_mul_f32_e32 v6, v5, v3
	v_mul_f32_e32 v3, v4, v3
	s_delay_alu instid0(VALU_DEP_2) | instskip(NEXT) | instid1(VALU_DEP_2)
	v_fmac_f32_e32 v6, v4, v2
	v_fma_f32 v4, v2, v5, -v3
	s_delay_alu instid0(VALU_DEP_2) | instskip(NEXT) | instid1(VALU_DEP_2)
	v_cvt_f64_f32_e32 v[2:3], v6
	v_cvt_f64_f32_e32 v[4:5], v4
	v_mad_co_u64_u32 v[6:7], null, s0, v76, 0
	s_delay_alu instid0(VALU_DEP_3) | instskip(NEXT) | instid1(VALU_DEP_3)
	v_mul_f64_e32 v[2:3], s[4:5], v[2:3]
	v_mul_f64_e32 v[4:5], s[4:5], v[4:5]
	s_delay_alu instid0(VALU_DEP_2) | instskip(NEXT) | instid1(VALU_DEP_2)
	v_cvt_f32_f64_e32 v2, v[2:3]
	v_cvt_f32_f64_e32 v3, v[4:5]
	v_mov_b32_e32 v4, v7
	s_delay_alu instid0(VALU_DEP_1) | instskip(NEXT) | instid1(VALU_DEP_1)
	v_mad_co_u64_u32 v[4:5], null, s1, v76, v[4:5]
	v_mov_b32_e32 v7, v4
	s_delay_alu instid0(VALU_DEP_1) | instskip(NEXT) | instid1(VALU_DEP_1)
	v_lshlrev_b64_e32 v[4:5], 3, v[6:7]
	v_add_co_u32 v4, vcc_lo, v0, v4
	s_wait_alu 0xfffd
	s_delay_alu instid0(VALU_DEP_2)
	v_add_co_ci_u32_e32 v5, vcc_lo, v1, v5, vcc_lo
	global_store_b64 v[4:5], v[2:3], off
	global_load_b64 v[6:7], v61, s[8:9] offset:96
	ds_load_2addr_b64 v[2:5], v28 offset0:12 offset1:16
	s_wait_loadcnt_dscnt 0x0
	v_mul_f32_e32 v8, v3, v7
	v_mul_f32_e32 v7, v2, v7
	s_delay_alu instid0(VALU_DEP_2) | instskip(NEXT) | instid1(VALU_DEP_2)
	v_fmac_f32_e32 v8, v2, v6
	v_fma_f32 v6, v6, v3, -v7
	s_delay_alu instid0(VALU_DEP_2) | instskip(NEXT) | instid1(VALU_DEP_2)
	v_cvt_f64_f32_e32 v[2:3], v8
	v_cvt_f64_f32_e32 v[6:7], v6
	v_mad_co_u64_u32 v[8:9], null, s0, v75, 0
	s_delay_alu instid0(VALU_DEP_3) | instskip(NEXT) | instid1(VALU_DEP_3)
	v_mul_f64_e32 v[2:3], s[4:5], v[2:3]
	v_mul_f64_e32 v[6:7], s[4:5], v[6:7]
	s_delay_alu instid0(VALU_DEP_2) | instskip(NEXT) | instid1(VALU_DEP_2)
	v_cvt_f32_f64_e32 v2, v[2:3]
	v_cvt_f32_f64_e32 v3, v[6:7]
	v_mov_b32_e32 v6, v9
	s_delay_alu instid0(VALU_DEP_1) | instskip(NEXT) | instid1(VALU_DEP_1)
	v_mad_co_u64_u32 v[6:7], null, s1, v75, v[6:7]
	v_mov_b32_e32 v9, v6
	s_delay_alu instid0(VALU_DEP_1) | instskip(NEXT) | instid1(VALU_DEP_1)
	v_lshlrev_b64_e32 v[6:7], 3, v[8:9]
	v_add_co_u32 v6, vcc_lo, v0, v6
	s_wait_alu 0xfffd
	s_delay_alu instid0(VALU_DEP_2)
	v_add_co_ci_u32_e32 v7, vcc_lo, v1, v7, vcc_lo
	global_store_b64 v[6:7], v[2:3], off
	global_load_b64 v[2:3], v61, s[8:9] offset:128
	s_wait_loadcnt 0x0
	v_mul_f32_e32 v6, v5, v3
	v_mul_f32_e32 v3, v4, v3
	s_delay_alu instid0(VALU_DEP_2) | instskip(NEXT) | instid1(VALU_DEP_2)
	v_fmac_f32_e32 v6, v4, v2
	v_fma_f32 v4, v2, v5, -v3
	s_delay_alu instid0(VALU_DEP_2) | instskip(NEXT) | instid1(VALU_DEP_2)
	v_cvt_f64_f32_e32 v[2:3], v6
	v_cvt_f64_f32_e32 v[4:5], v4
	v_mad_co_u64_u32 v[6:7], null, s0, v74, 0
	s_delay_alu instid0(VALU_DEP_3) | instskip(NEXT) | instid1(VALU_DEP_3)
	v_mul_f64_e32 v[2:3], s[4:5], v[2:3]
	v_mul_f64_e32 v[4:5], s[4:5], v[4:5]
	s_delay_alu instid0(VALU_DEP_2) | instskip(NEXT) | instid1(VALU_DEP_2)
	v_cvt_f32_f64_e32 v2, v[2:3]
	v_cvt_f32_f64_e32 v3, v[4:5]
	v_mov_b32_e32 v4, v7
	s_delay_alu instid0(VALU_DEP_1) | instskip(NEXT) | instid1(VALU_DEP_1)
	v_mad_co_u64_u32 v[4:5], null, s1, v74, v[4:5]
	v_mov_b32_e32 v7, v4
	s_delay_alu instid0(VALU_DEP_1) | instskip(NEXT) | instid1(VALU_DEP_1)
	v_lshlrev_b64_e32 v[4:5], 3, v[6:7]
	v_add_co_u32 v4, vcc_lo, v0, v4
	s_wait_alu 0xfffd
	s_delay_alu instid0(VALU_DEP_2)
	;; [unrolled: 57-line block ×8, first 2 shown]
	v_add_co_ci_u32_e32 v1, vcc_lo, v1, v5, vcc_lo
	global_store_b64 v[0:1], v[2:3], off
.LBB0_15:
	s_nop 0
	s_sendmsg sendmsg(MSG_DEALLOC_VGPRS)
	s_endpgm
	.section	.rodata,"a",@progbits
	.p2align	6, 0x0
	.amdhsa_kernel bluestein_single_fwd_len68_dim1_sp_op_CI_CI
		.amdhsa_group_segment_fixed_size 8160
		.amdhsa_private_segment_fixed_size 0
		.amdhsa_kernarg_size 104
		.amdhsa_user_sgpr_count 2
		.amdhsa_user_sgpr_dispatch_ptr 0
		.amdhsa_user_sgpr_queue_ptr 0
		.amdhsa_user_sgpr_kernarg_segment_ptr 1
		.amdhsa_user_sgpr_dispatch_id 0
		.amdhsa_user_sgpr_private_segment_size 0
		.amdhsa_wavefront_size32 1
		.amdhsa_uses_dynamic_stack 0
		.amdhsa_enable_private_segment 0
		.amdhsa_system_sgpr_workgroup_id_x 1
		.amdhsa_system_sgpr_workgroup_id_y 0
		.amdhsa_system_sgpr_workgroup_id_z 0
		.amdhsa_system_sgpr_workgroup_info 0
		.amdhsa_system_vgpr_workitem_id 0
		.amdhsa_next_free_vgpr 220
		.amdhsa_next_free_sgpr 14
		.amdhsa_reserve_vcc 1
		.amdhsa_float_round_mode_32 0
		.amdhsa_float_round_mode_16_64 0
		.amdhsa_float_denorm_mode_32 3
		.amdhsa_float_denorm_mode_16_64 3
		.amdhsa_fp16_overflow 0
		.amdhsa_workgroup_processor_mode 1
		.amdhsa_memory_ordered 1
		.amdhsa_forward_progress 0
		.amdhsa_round_robin_scheduling 0
		.amdhsa_exception_fp_ieee_invalid_op 0
		.amdhsa_exception_fp_denorm_src 0
		.amdhsa_exception_fp_ieee_div_zero 0
		.amdhsa_exception_fp_ieee_overflow 0
		.amdhsa_exception_fp_ieee_underflow 0
		.amdhsa_exception_fp_ieee_inexact 0
		.amdhsa_exception_int_div_zero 0
	.end_amdhsa_kernel
	.text
.Lfunc_end0:
	.size	bluestein_single_fwd_len68_dim1_sp_op_CI_CI, .Lfunc_end0-bluestein_single_fwd_len68_dim1_sp_op_CI_CI
                                        ; -- End function
	.section	.AMDGPU.csdata,"",@progbits
; Kernel info:
; codeLenInByte = 17144
; NumSgprs: 16
; NumVgprs: 220
; ScratchSize: 0
; MemoryBound: 0
; FloatMode: 240
; IeeeMode: 1
; LDSByteSize: 8160 bytes/workgroup (compile time only)
; SGPRBlocks: 1
; VGPRBlocks: 27
; NumSGPRsForWavesPerEU: 16
; NumVGPRsForWavesPerEU: 220
; Occupancy: 6
; WaveLimiterHint : 1
; COMPUTE_PGM_RSRC2:SCRATCH_EN: 0
; COMPUTE_PGM_RSRC2:USER_SGPR: 2
; COMPUTE_PGM_RSRC2:TRAP_HANDLER: 0
; COMPUTE_PGM_RSRC2:TGID_X_EN: 1
; COMPUTE_PGM_RSRC2:TGID_Y_EN: 0
; COMPUTE_PGM_RSRC2:TGID_Z_EN: 0
; COMPUTE_PGM_RSRC2:TIDIG_COMP_CNT: 0
	.text
	.p2alignl 7, 3214868480
	.fill 96, 4, 3214868480
	.type	__hip_cuid_4f6181fe582481d1,@object ; @__hip_cuid_4f6181fe582481d1
	.section	.bss,"aw",@nobits
	.globl	__hip_cuid_4f6181fe582481d1
__hip_cuid_4f6181fe582481d1:
	.byte	0                               ; 0x0
	.size	__hip_cuid_4f6181fe582481d1, 1

	.ident	"AMD clang version 19.0.0git (https://github.com/RadeonOpenCompute/llvm-project roc-6.4.0 25133 c7fe45cf4b819c5991fe208aaa96edf142730f1d)"
	.section	".note.GNU-stack","",@progbits
	.addrsig
	.addrsig_sym __hip_cuid_4f6181fe582481d1
	.amdgpu_metadata
---
amdhsa.kernels:
  - .args:
      - .actual_access:  read_only
        .address_space:  global
        .offset:         0
        .size:           8
        .value_kind:     global_buffer
      - .actual_access:  read_only
        .address_space:  global
        .offset:         8
        .size:           8
        .value_kind:     global_buffer
      - .actual_access:  read_only
        .address_space:  global
        .offset:         16
        .size:           8
        .value_kind:     global_buffer
      - .actual_access:  read_only
        .address_space:  global
        .offset:         24
        .size:           8
        .value_kind:     global_buffer
      - .actual_access:  read_only
        .address_space:  global
        .offset:         32
        .size:           8
        .value_kind:     global_buffer
      - .offset:         40
        .size:           8
        .value_kind:     by_value
      - .address_space:  global
        .offset:         48
        .size:           8
        .value_kind:     global_buffer
      - .address_space:  global
        .offset:         56
        .size:           8
        .value_kind:     global_buffer
      - .address_space:  global
        .offset:         64
        .size:           8
        .value_kind:     global_buffer
      - .address_space:  global
        .offset:         72
        .size:           8
        .value_kind:     global_buffer
      - .offset:         80
        .size:           4
        .value_kind:     by_value
      - .address_space:  global
        .offset:         88
        .size:           8
        .value_kind:     global_buffer
      - .address_space:  global
        .offset:         96
        .size:           8
        .value_kind:     global_buffer
    .group_segment_fixed_size: 8160
    .kernarg_segment_align: 8
    .kernarg_segment_size: 104
    .language:       OpenCL C
    .language_version:
      - 2
      - 0
    .max_flat_workgroup_size: 255
    .name:           bluestein_single_fwd_len68_dim1_sp_op_CI_CI
    .private_segment_fixed_size: 0
    .sgpr_count:     16
    .sgpr_spill_count: 0
    .symbol:         bluestein_single_fwd_len68_dim1_sp_op_CI_CI.kd
    .uniform_work_group_size: 1
    .uses_dynamic_stack: false
    .vgpr_count:     220
    .vgpr_spill_count: 0
    .wavefront_size: 32
    .workgroup_processor_mode: 1
amdhsa.target:   amdgcn-amd-amdhsa--gfx1201
amdhsa.version:
  - 1
  - 2
...

	.end_amdgpu_metadata
